;; amdgpu-corpus repo=ROCm/rocFFT kind=compiled arch=gfx1030 opt=O3
	.text
	.amdgcn_target "amdgcn-amd-amdhsa--gfx1030"
	.amdhsa_code_object_version 6
	.protected	fft_rtc_back_len1352_factors_2_13_13_4_wgs_52_tpt_52_halfLds_dp_ip_CI_unitstride_sbrr_dirReg ; -- Begin function fft_rtc_back_len1352_factors_2_13_13_4_wgs_52_tpt_52_halfLds_dp_ip_CI_unitstride_sbrr_dirReg
	.globl	fft_rtc_back_len1352_factors_2_13_13_4_wgs_52_tpt_52_halfLds_dp_ip_CI_unitstride_sbrr_dirReg
	.p2align	8
	.type	fft_rtc_back_len1352_factors_2_13_13_4_wgs_52_tpt_52_halfLds_dp_ip_CI_unitstride_sbrr_dirReg,@function
fft_rtc_back_len1352_factors_2_13_13_4_wgs_52_tpt_52_halfLds_dp_ip_CI_unitstride_sbrr_dirReg: ; @fft_rtc_back_len1352_factors_2_13_13_4_wgs_52_tpt_52_halfLds_dp_ip_CI_unitstride_sbrr_dirReg
; %bb.0:
	s_mov_b64 s[46:47], s[2:3]
	s_mov_b64 s[44:45], s[0:1]
	s_clause 0x2
	s_load_dwordx4 s[8:11], s[4:5], 0x0
	s_load_dwordx2 s[2:3], s[4:5], 0x50
	s_load_dwordx2 s[12:13], s[4:5], 0x18
	v_mul_u32_u24_e32 v1, 0x4ed, v0
	v_mov_b32_e32 v3, 0
	s_add_u32 s44, s44, s7
	s_addc_u32 s45, s45, 0
	v_add_nc_u32_sdwa v5, s6, v1 dst_sel:DWORD dst_unused:UNUSED_PAD src0_sel:DWORD src1_sel:WORD_1
	v_mov_b32_e32 v1, 0
	v_mov_b32_e32 v6, v3
	;; [unrolled: 1-line block ×3, first 2 shown]
	s_waitcnt lgkmcnt(0)
	v_cmp_lt_u64_e64 s0, s[10:11], 2
	s_and_b32 vcc_lo, exec_lo, s0
	s_cbranch_vccnz .LBB0_8
; %bb.1:
	s_load_dwordx2 s[0:1], s[4:5], 0x10
	v_mov_b32_e32 v1, 0
	s_add_u32 s6, s12, 8
	v_mov_b32_e32 v2, 0
	s_addc_u32 s7, s13, 0
	s_mov_b64 s[16:17], 1
	s_waitcnt lgkmcnt(0)
	s_add_u32 s14, s0, 8
	s_addc_u32 s15, s1, 0
.LBB0_2:                                ; =>This Inner Loop Header: Depth=1
	s_load_dwordx2 s[18:19], s[14:15], 0x0
                                        ; implicit-def: $vgpr7_vgpr8
	s_mov_b32 s0, exec_lo
	s_waitcnt lgkmcnt(0)
	v_or_b32_e32 v4, s19, v6
	v_cmpx_ne_u64_e32 0, v[3:4]
	s_xor_b32 s1, exec_lo, s0
	s_cbranch_execz .LBB0_4
; %bb.3:                                ;   in Loop: Header=BB0_2 Depth=1
	v_cvt_f32_u32_e32 v4, s18
	v_cvt_f32_u32_e32 v7, s19
	s_sub_u32 s0, 0, s18
	s_subb_u32 s20, 0, s19
	v_fmac_f32_e32 v4, 0x4f800000, v7
	v_rcp_f32_e32 v4, v4
	v_mul_f32_e32 v4, 0x5f7ffffc, v4
	v_mul_f32_e32 v7, 0x2f800000, v4
	v_trunc_f32_e32 v7, v7
	v_fmac_f32_e32 v4, 0xcf800000, v7
	v_cvt_u32_f32_e32 v7, v7
	v_cvt_u32_f32_e32 v4, v4
	v_mul_lo_u32 v8, s0, v7
	v_mul_hi_u32 v9, s0, v4
	v_mul_lo_u32 v10, s20, v4
	v_add_nc_u32_e32 v8, v9, v8
	v_mul_lo_u32 v9, s0, v4
	v_add_nc_u32_e32 v8, v8, v10
	v_mul_hi_u32 v10, v4, v9
	v_mul_lo_u32 v11, v4, v8
	v_mul_hi_u32 v12, v4, v8
	v_mul_hi_u32 v13, v7, v9
	v_mul_lo_u32 v9, v7, v9
	v_mul_hi_u32 v14, v7, v8
	v_mul_lo_u32 v8, v7, v8
	v_add_co_u32 v10, vcc_lo, v10, v11
	v_add_co_ci_u32_e32 v11, vcc_lo, 0, v12, vcc_lo
	v_add_co_u32 v9, vcc_lo, v10, v9
	v_add_co_ci_u32_e32 v9, vcc_lo, v11, v13, vcc_lo
	v_add_co_ci_u32_e32 v10, vcc_lo, 0, v14, vcc_lo
	v_add_co_u32 v8, vcc_lo, v9, v8
	v_add_co_ci_u32_e32 v9, vcc_lo, 0, v10, vcc_lo
	v_add_co_u32 v4, vcc_lo, v4, v8
	v_add_co_ci_u32_e32 v7, vcc_lo, v7, v9, vcc_lo
	v_mul_hi_u32 v8, s0, v4
	v_mul_lo_u32 v10, s20, v4
	v_mul_lo_u32 v9, s0, v7
	v_add_nc_u32_e32 v8, v8, v9
	v_mul_lo_u32 v9, s0, v4
	v_add_nc_u32_e32 v8, v8, v10
	v_mul_hi_u32 v10, v4, v9
	v_mul_lo_u32 v11, v4, v8
	v_mul_hi_u32 v12, v4, v8
	v_mul_hi_u32 v13, v7, v9
	v_mul_lo_u32 v9, v7, v9
	v_mul_hi_u32 v14, v7, v8
	v_mul_lo_u32 v8, v7, v8
	v_add_co_u32 v10, vcc_lo, v10, v11
	v_add_co_ci_u32_e32 v11, vcc_lo, 0, v12, vcc_lo
	v_add_co_u32 v9, vcc_lo, v10, v9
	v_add_co_ci_u32_e32 v9, vcc_lo, v11, v13, vcc_lo
	v_add_co_ci_u32_e32 v10, vcc_lo, 0, v14, vcc_lo
	v_add_co_u32 v8, vcc_lo, v9, v8
	v_add_co_ci_u32_e32 v9, vcc_lo, 0, v10, vcc_lo
	v_add_co_u32 v4, vcc_lo, v4, v8
	v_add_co_ci_u32_e32 v11, vcc_lo, v7, v9, vcc_lo
	v_mul_hi_u32 v13, v5, v4
	v_mad_u64_u32 v[9:10], null, v6, v4, 0
	v_mad_u64_u32 v[7:8], null, v5, v11, 0
	;; [unrolled: 1-line block ×3, first 2 shown]
	v_add_co_u32 v4, vcc_lo, v13, v7
	v_add_co_ci_u32_e32 v7, vcc_lo, 0, v8, vcc_lo
	v_add_co_u32 v4, vcc_lo, v4, v9
	v_add_co_ci_u32_e32 v4, vcc_lo, v7, v10, vcc_lo
	v_add_co_ci_u32_e32 v7, vcc_lo, 0, v12, vcc_lo
	v_add_co_u32 v4, vcc_lo, v4, v11
	v_add_co_ci_u32_e32 v9, vcc_lo, 0, v7, vcc_lo
	v_mul_lo_u32 v10, s19, v4
	v_mad_u64_u32 v[7:8], null, s18, v4, 0
	v_mul_lo_u32 v11, s18, v9
	v_sub_co_u32 v7, vcc_lo, v5, v7
	v_add3_u32 v8, v8, v11, v10
	v_sub_nc_u32_e32 v10, v6, v8
	v_subrev_co_ci_u32_e64 v10, s0, s19, v10, vcc_lo
	v_add_co_u32 v11, s0, v4, 2
	v_add_co_ci_u32_e64 v12, s0, 0, v9, s0
	v_sub_co_u32 v13, s0, v7, s18
	v_sub_co_ci_u32_e32 v8, vcc_lo, v6, v8, vcc_lo
	v_subrev_co_ci_u32_e64 v10, s0, 0, v10, s0
	v_cmp_le_u32_e32 vcc_lo, s18, v13
	v_cmp_eq_u32_e64 s0, s19, v8
	v_cndmask_b32_e64 v13, 0, -1, vcc_lo
	v_cmp_le_u32_e32 vcc_lo, s19, v10
	v_cndmask_b32_e64 v14, 0, -1, vcc_lo
	v_cmp_le_u32_e32 vcc_lo, s18, v7
	;; [unrolled: 2-line block ×3, first 2 shown]
	v_cndmask_b32_e64 v15, 0, -1, vcc_lo
	v_cmp_eq_u32_e32 vcc_lo, s19, v10
	v_cndmask_b32_e64 v7, v15, v7, s0
	v_cndmask_b32_e32 v10, v14, v13, vcc_lo
	v_add_co_u32 v13, vcc_lo, v4, 1
	v_add_co_ci_u32_e32 v14, vcc_lo, 0, v9, vcc_lo
	v_cmp_ne_u32_e32 vcc_lo, 0, v10
	v_cndmask_b32_e32 v8, v14, v12, vcc_lo
	v_cndmask_b32_e32 v10, v13, v11, vcc_lo
	v_cmp_ne_u32_e32 vcc_lo, 0, v7
	v_cndmask_b32_e32 v8, v9, v8, vcc_lo
	v_cndmask_b32_e32 v7, v4, v10, vcc_lo
.LBB0_4:                                ;   in Loop: Header=BB0_2 Depth=1
	s_andn2_saveexec_b32 s0, s1
	s_cbranch_execz .LBB0_6
; %bb.5:                                ;   in Loop: Header=BB0_2 Depth=1
	v_cvt_f32_u32_e32 v4, s18
	s_sub_i32 s1, 0, s18
	v_rcp_iflag_f32_e32 v4, v4
	v_mul_f32_e32 v4, 0x4f7ffffe, v4
	v_cvt_u32_f32_e32 v4, v4
	v_mul_lo_u32 v7, s1, v4
	v_mul_hi_u32 v7, v4, v7
	v_add_nc_u32_e32 v4, v4, v7
	v_mul_hi_u32 v4, v5, v4
	v_mul_lo_u32 v7, v4, s18
	v_add_nc_u32_e32 v8, 1, v4
	v_sub_nc_u32_e32 v7, v5, v7
	v_subrev_nc_u32_e32 v9, s18, v7
	v_cmp_le_u32_e32 vcc_lo, s18, v7
	v_cndmask_b32_e32 v7, v7, v9, vcc_lo
	v_cndmask_b32_e32 v4, v4, v8, vcc_lo
	v_cmp_le_u32_e32 vcc_lo, s18, v7
	v_add_nc_u32_e32 v8, 1, v4
	v_cndmask_b32_e32 v7, v4, v8, vcc_lo
	v_mov_b32_e32 v8, v3
.LBB0_6:                                ;   in Loop: Header=BB0_2 Depth=1
	s_or_b32 exec_lo, exec_lo, s0
	s_load_dwordx2 s[0:1], s[6:7], 0x0
	v_mul_lo_u32 v4, v8, s18
	v_mul_lo_u32 v11, v7, s19
	v_mad_u64_u32 v[9:10], null, v7, s18, 0
	s_add_u32 s16, s16, 1
	s_addc_u32 s17, s17, 0
	s_add_u32 s6, s6, 8
	s_addc_u32 s7, s7, 0
	;; [unrolled: 2-line block ×3, first 2 shown]
	v_add3_u32 v4, v10, v11, v4
	v_sub_co_u32 v5, vcc_lo, v5, v9
	v_sub_co_ci_u32_e32 v4, vcc_lo, v6, v4, vcc_lo
	s_waitcnt lgkmcnt(0)
	v_mul_lo_u32 v6, s1, v5
	v_mul_lo_u32 v4, s0, v4
	v_mad_u64_u32 v[1:2], null, s0, v5, v[1:2]
	v_cmp_ge_u64_e64 s0, s[16:17], s[10:11]
	s_and_b32 vcc_lo, exec_lo, s0
	v_add3_u32 v2, v6, v2, v4
	s_cbranch_vccnz .LBB0_9
; %bb.7:                                ;   in Loop: Header=BB0_2 Depth=1
	v_mov_b32_e32 v5, v7
	v_mov_b32_e32 v6, v8
	s_branch .LBB0_2
.LBB0_8:
	v_mov_b32_e32 v8, v6
	v_mov_b32_e32 v7, v5
.LBB0_9:
	s_lshl_b64 s[0:1], s[10:11], 3
	v_mul_hi_u32 v3, 0x4ec4ec5, v0
	s_add_u32 s0, s12, s0
	s_addc_u32 s1, s13, s1
                                        ; implicit-def: $vgpr26_vgpr27
                                        ; implicit-def: $vgpr50_vgpr51
                                        ; implicit-def: $vgpr62_vgpr63
                                        ; implicit-def: $vgpr38_vgpr39
                                        ; implicit-def: $vgpr74_vgpr75
                                        ; implicit-def: $vgpr46_vgpr47
                                        ; implicit-def: $vgpr66_vgpr67
                                        ; implicit-def: $vgpr34_vgpr35
                                        ; implicit-def: $vgpr70_vgpr71
                                        ; implicit-def: $vgpr42_vgpr43
                                        ; implicit-def: $vgpr78_vgpr79
                                        ; implicit-def: $vgpr54_vgpr55
                                        ; implicit-def: $vgpr110_vgpr111
                                        ; implicit-def: $vgpr106_vgpr107
                                        ; implicit-def: $vgpr118_vgpr119
                                        ; implicit-def: $vgpr114_vgpr115
                                        ; implicit-def: $vgpr126_vgpr127
                                        ; implicit-def: $vgpr122_vgpr123
                                        ; implicit-def: $vgpr82_vgpr83
                                        ; implicit-def: $vgpr18_vgpr19
                                        ; implicit-def: $vgpr14_vgpr15
                                        ; implicit-def: $vgpr10_vgpr11
                                        ; implicit-def: $vgpr22_vgpr23
                                        ; implicit-def: $vgpr30_vgpr31
	s_load_dwordx2 s[0:1], s[0:1], 0x0
	s_load_dwordx2 s[4:5], s[4:5], 0x20
	v_mul_u32_u24_e32 v3, 52, v3
	v_sub_nc_u32_e32 v130, v0, v3
	s_waitcnt lgkmcnt(0)
	v_mul_lo_u32 v4, s0, v8
	v_mul_lo_u32 v5, s1, v7
	v_mad_u64_u32 v[1:2], null, s0, v7, v[1:2]
	v_cmp_gt_u64_e32 vcc_lo, s[4:5], v[7:8]
                                        ; implicit-def: $vgpr6_vgpr7
	v_add3_u32 v2, v5, v2, v4
	v_lshlrev_b64 v[0:1], 4, v[1:2]
                                        ; implicit-def: $vgpr2_vgpr3
	buffer_store_dword v0, off, s[44:47], 0 offset:8 ; 4-byte Folded Spill
	buffer_store_dword v1, off, s[44:47], 0 offset:12 ; 4-byte Folded Spill
	v_or_b32_e32 v0, 0x340, v130
	buffer_store_dword v0, off, s[44:47], 0 ; 4-byte Folded Spill
	buffer_store_dword v1, off, s[44:47], 0 offset:4 ; 4-byte Folded Spill
	s_and_saveexec_b32 s1, vcc_lo
	s_cbranch_execz .LBB0_11
; %bb.10:
	s_clause 0x3
	buffer_load_dword v2, off, s[44:47], 0 offset:8
	buffer_load_dword v3, off, s[44:47], 0 offset:12
	buffer_load_dword v6, off, s[44:47], 0
	buffer_load_dword v7, off, s[44:47], 0 offset:4
	v_mov_b32_e32 v131, 0
	v_lshlrev_b64 v[0:1], 4, v[130:131]
	s_waitcnt vmcnt(0)
	v_mov_b32_e32 v7, v131
	v_add_co_u32 v8, s0, s2, v2
	v_add_co_ci_u32_e64 v9, s0, s3, v3, s0
	v_mov_b32_e32 v10, v6
	v_add_co_u32 v32, s0, v8, v0
	v_add_co_ci_u32_e64 v33, s0, v9, v1, s0
	v_lshlrev_b64 v[6:7], 4, v[6:7]
	v_add_co_u32 v4, s0, 0x2800, v32
	v_add_co_ci_u32_e64 v5, s0, 0, v33, s0
	v_add_co_u32 v34, s0, 0x3000, v32
	v_add_co_ci_u32_e64 v35, s0, 0, v33, s0
	;; [unrolled: 2-line block ×10, first 2 shown]
	v_add_co_u32 v58, s0, 0x5000, v32
	s_clause 0x1
	global_load_dwordx4 v[28:31], v[32:33], off
	global_load_dwordx4 v[0:3], v[32:33], off offset:832
	buffer_store_dword v10, off, s[44:47], 0 ; 4-byte Folded Spill
	buffer_store_dword v11, off, s[44:47], 0 offset:4 ; 4-byte Folded Spill
	s_clause 0x5
	global_load_dwordx4 v[24:27], v[4:5], off offset:576
	global_load_dwordx4 v[8:11], v[32:33], off offset:1664
	;; [unrolled: 1-line block ×4, first 2 shown]
	global_load_dwordx4 v[12:15], v[12:13], off
	global_load_dwordx4 v[16:19], v[36:37], off offset:1280
	v_add_co_ci_u32_e64 v59, s0, 0, v33, s0
	s_clause 0x11
	global_load_dwordx4 v[48:51], v[36:37], off offset:448
	global_load_dwordx4 v[60:63], v[34:35], off offset:1856
	;; [unrolled: 1-line block ×18, first 2 shown]
.LBB0_11:
	s_or_b32 exec_lo, exec_lo, s1
	s_waitcnt vmcnt(21)
	v_add_f64 v[94:95], v[2:3], -v[22:23]
	v_add_f64 v[136:137], v[28:29], -v[24:25]
	s_waitcnt vmcnt(20)
	v_add_f64 v[98:99], v[10:11], -v[6:7]
	s_waitcnt vmcnt(16)
	;; [unrolled: 2-line block ×3, first 2 shown]
	v_add_f64 v[86:87], v[38:39], -v[82:83]
	v_add_f64 v[24:25], v[0:1], -v[20:21]
	s_waitcnt vmcnt(6)
	v_add_f64 v[62:63], v[32:33], -v[116:117]
	s_waitcnt vmcnt(2)
	v_add_f64 v[70:71], v[106:107], -v[70:71]
	v_add_f64 v[82:83], v[122:123], -v[74:75]
	s_waitcnt vmcnt(1)
	v_add_f64 v[74:75], v[42:43], -v[110:111]
	v_add_f64 v[102:103], v[50:51], -v[14:15]
	;; [unrolled: 1-line block ×5, first 2 shown]
	s_waitcnt vmcnt(0)
	v_add_f64 v[78:79], v[54:55], -v[78:79]
	v_add_nc_u32_e32 v144, 52, v130
	v_add_nc_u32_e32 v255, 0x104, v130
	v_lshl_add_u32 v131, v130, 3, 0
	v_and_b32_e32 v147, 1, v130
	s_mov_b32 s4, 0x4267c47c
	s_mov_b32 s12, 0x42a4c3d2
	v_lshl_add_u32 v111, v255, 4, 0
	v_fma_f64 v[92:93], v[2:3], 2.0, -v[94:95]
	v_add_f64 v[2:3], v[46:47], -v[126:127]
	v_fma_f64 v[134:135], v[28:29], 2.0, -v[136:137]
	v_add_f64 v[28:29], v[8:9], -v[4:5]
	;; [unrolled: 2-line block ×5, first 2 shown]
	v_fma_f64 v[22:23], v[0:1], 2.0, -v[24:25]
	v_fma_f64 v[60:61], v[32:33], 2.0, -v[62:63]
	v_add_f64 v[32:33], v[104:105], -v[68:69]
	v_fma_f64 v[68:69], v[106:107], 2.0, -v[70:71]
	v_add_f64 v[106:107], v[40:41], -v[108:109]
	;; [unrolled: 2-line block ×5, first 2 shown]
	v_fma_f64 v[56:57], v[30:31], 2.0, -v[58:59]
	v_fma_f64 v[12:13], v[36:37], 2.0, -v[14:15]
	;; [unrolled: 1-line block ×3, first 2 shown]
	v_add_f64 v[46:47], v[112:113], -v[64:65]
	v_fma_f64 v[26:27], v[8:9], 2.0, -v[28:29]
	v_lshl_add_u32 v108, v130, 4, 0
	v_fma_f64 v[8:9], v[16:17], 2.0, -v[10:11]
	v_lshl_add_u32 v109, v144, 4, 0
	v_fma_f64 v[16:17], v[120:121], 2.0, -v[18:19]
	v_fma_f64 v[80:81], v[122:123], 2.0, -v[82:83]
	v_fma_f64 v[36:37], v[44:45], 2.0, -v[38:39]
	ds_write_b128 v108, v[134:137]
	v_fma_f64 v[76:77], v[54:55], 2.0, -v[78:79]
	v_fma_f64 v[30:31], v[104:105], 2.0, -v[32:33]
	v_add_nc_u32_e32 v170, 0x400, v131
	v_fma_f64 v[104:105], v[40:41], 2.0, -v[106:107]
	v_add_nc_u32_e32 v171, 0x800, v131
	;; [unrolled: 2-line block ×4, first 2 shown]
	v_fma_f64 v[64:65], v[34:35], 2.0, -v[66:67]
	ds_write_b128 v109, v[22:25]
	ds_write_b128 v108, v[26:29] offset:1664
	ds_write_b128 v108, v[4:7] offset:2496
	v_fma_f64 v[44:45], v[112:113], 2.0, -v[46:47]
	v_add_nc_u32_e32 v4, 0xd0, v130
	v_add_nc_u32_e32 v173, 0x1800, v131
	;; [unrolled: 1-line block ×4, first 2 shown]
	ds_write_b128 v111, v[12:15]
	buffer_store_dword v4, off, s[44:47], 0 offset:24 ; 4-byte Folded Spill
	v_lshl_add_u32 v110, v4, 4, 0
	v_add_nc_u32_e32 v4, 0x138, v130
	s_mov_b32 s18, 0x66966769
	s_mov_b32 s24, 0x2ef20147
	;; [unrolled: 1-line block ×3, first 2 shown]
	ds_write_b128 v110, v[8:11]
	v_lshl_add_u32 v112, v4, 4, 0
	s_mov_b32 s38, 0x4bc48dbf
	s_mov_b32 s5, 0xbfddbe06
	;; [unrolled: 1-line block ×3, first 2 shown]
	ds_write_b128 v112, v[16:19]
	ds_write_b128 v108, v[36:39] offset:5824
	ds_write_b128 v108, v[44:47] offset:6656
	;; [unrolled: 1-line block ×6, first 2 shown]
	s_waitcnt lgkmcnt(0)
	s_waitcnt_vscnt null, 0x0
	s_barrier
	buffer_gl0_inv
	ds_read2_b64 v[4:7], v131 offset1:52
	ds_read2_b64 v[60:63], v131 offset0:104 offset1:156
	ds_read2_b64 v[52:55], v170 offset0:80 offset1:132
	;; [unrolled: 1-line block ×12, first 2 shown]
	s_waitcnt lgkmcnt(0)
	s_barrier
	buffer_gl0_inv
	ds_write_b128 v108, v[56:59]
	ds_write_b128 v109, v[92:95]
	ds_write_b128 v108, v[96:99] offset:1664
	ds_write_b128 v108, v[100:103] offset:2496
	ds_write_b128 v110, v[88:91]
	ds_write_b128 v111, v[84:87]
	;; [unrolled: 1-line block ×3, first 2 shown]
	ds_write_b128 v108, v[0:3] offset:5824
	ds_write_b128 v108, v[48:51] offset:6656
	;; [unrolled: 1-line block ×6, first 2 shown]
	v_mul_u32_u24_e32 v92, 12, v147
	s_waitcnt lgkmcnt(0)
	s_barrier
	buffer_gl0_inv
	ds_read2_b64 v[0:3], v131 offset1:52
	ds_read2_b64 v[100:103], v131 offset0:104 offset1:156
	ds_read2_b64 v[104:107], v170 offset0:80 offset1:132
	;; [unrolled: 1-line block ×12, first 2 shown]
	v_lshlrev_b32_e32 v108, 4, v92
	s_clause 0x7
	global_load_dwordx4 v[148:151], v108, s[8:9] offset:48
	global_load_dwordx4 v[152:155], v108, s[8:9] offset:32
	;; [unrolled: 1-line block ×3, first 2 shown]
	global_load_dwordx4 v[160:163], v108, s[8:9]
	global_load_dwordx4 v[164:167], v108, s[8:9] offset:112
	global_load_dwordx4 v[175:178], v108, s[8:9] offset:96
	;; [unrolled: 1-line block ×4, first 2 shown]
	s_mov_b32 s19, 0xbfefc445
	s_mov_b32 s25, 0xbfedeba7
	;; [unrolled: 1-line block ×28, first 2 shown]
	v_cmp_gt_u32_e64 s0, 26, v130
	s_waitcnt vmcnt(4) lgkmcnt(11)
	v_mul_f64 v[92:93], v[100:101], v[162:163]
	v_fma_f64 v[138:139], v[60:61], v[160:161], v[92:93]
	v_mul_f64 v[60:61], v[60:61], v[162:163]
	v_fma_f64 v[140:141], v[100:101], v[160:161], -v[60:61]
	s_waitcnt lgkmcnt(10)
	v_mul_f64 v[60:61], v[104:105], v[158:159]
	v_fma_f64 v[124:125], v[52:53], v[156:157], v[60:61]
	v_mul_f64 v[52:53], v[52:53], v[158:159]
	v_fma_f64 v[126:127], v[104:105], v[156:157], -v[52:53]
	s_waitcnt lgkmcnt(9)
	v_mul_f64 v[52:53], v[94:95], v[154:155]
	v_fma_f64 v[118:119], v[44:45], v[152:153], v[52:53]
	v_mul_f64 v[44:45], v[44:45], v[154:155]
	v_fma_f64 v[120:121], v[94:95], v[152:153], -v[44:45]
	s_clause 0x3
	global_load_dwordx4 v[92:95], v108, s[8:9] offset:176
	global_load_dwordx4 v[98:101], v108, s[8:9] offset:160
	;; [unrolled: 1-line block ×4, first 2 shown]
	s_waitcnt lgkmcnt(8)
	v_mul_f64 v[44:45], v[88:89], v[150:151]
	s_waitcnt vmcnt(0) lgkmcnt(0)
	s_barrier
	buffer_gl0_inv
	v_fma_f64 v[114:115], v[40:41], v[148:149], v[44:45]
	v_mul_f64 v[40:41], v[40:41], v[150:151]
	v_fma_f64 v[116:117], v[88:89], v[148:149], -v[40:41]
	v_mul_f64 v[40:41], v[84:85], v[185:186]
	v_fma_f64 v[110:111], v[36:37], v[183:184], v[40:41]
	v_mul_f64 v[36:37], v[36:37], v[185:186]
	v_fma_f64 v[112:113], v[84:85], v[183:184], -v[36:37]
	v_mul_f64 v[36:37], v[80:81], v[181:182]
	v_fma_f64 v[60:61], v[32:33], v[179:180], v[36:37]
	v_mul_f64 v[32:33], v[32:33], v[181:182]
	v_mul_f64 v[36:37], v[76:77], v[177:178]
	v_fma_f64 v[32:33], v[80:81], v[179:180], -v[32:33]
	v_fma_f64 v[80:81], v[28:29], v[175:176], v[36:37]
	v_mul_f64 v[28:29], v[28:29], v[177:178]
	v_mul_f64 v[36:37], v[72:73], v[166:167]
	v_fma_f64 v[28:29], v[76:77], v[175:176], -v[28:29]
	v_fma_f64 v[76:77], v[24:25], v[164:165], v[36:37]
	v_mul_f64 v[24:25], v[24:25], v[166:167]
	v_fma_f64 v[24:25], v[72:73], v[164:165], -v[24:25]
	v_mul_f64 v[36:37], v[68:69], v[193:194]
	v_fma_f64 v[72:73], v[20:21], v[191:192], v[36:37]
	v_mul_f64 v[20:21], v[20:21], v[193:194]
	v_mul_f64 v[36:37], v[64:65], v[189:190]
	v_fma_f64 v[20:21], v[68:69], v[191:192], -v[20:21]
	v_fma_f64 v[68:69], v[12:13], v[187:188], v[36:37]
	v_mul_f64 v[12:13], v[12:13], v[189:190]
	v_mul_f64 v[36:37], v[56:57], v[100:101]
	v_fma_f64 v[12:13], v[64:65], v[187:188], -v[12:13]
	v_fma_f64 v[64:65], v[8:9], v[98:99], v[36:37]
	v_mul_f64 v[8:9], v[8:9], v[100:101]
	v_fma_f64 v[134:135], v[56:57], v[98:99], -v[8:9]
	v_mul_f64 v[8:9], v[48:49], v[94:95]
	v_fma_f64 v[142:143], v[16:17], v[92:93], v[8:9]
	v_mul_f64 v[8:9], v[16:17], v[94:95]
	v_fma_f64 v[16:17], v[48:49], v[92:93], -v[8:9]
	v_mul_f64 v[8:9], v[102:103], v[162:163]
	;; [unrolled: 4-line block ×9, first 2 shown]
	v_subrev_nc_u32_e32 v175, 26, v130
	v_fma_f64 v[52:53], v[26:27], v[164:165], v[8:9]
	v_mul_f64 v[8:9], v[26:27], v[166:167]
	v_fma_f64 v[54:55], v[74:75], v[164:165], -v[8:9]
	v_mul_f64 v[8:9], v[70:71], v[193:194]
	v_fma_f64 v[82:83], v[22:23], v[191:192], v[8:9]
	v_mul_f64 v[8:9], v[22:23], v[193:194]
	v_fma_f64 v[86:87], v[70:71], v[191:192], -v[8:9]
	v_mul_f64 v[8:9], v[66:67], v[189:190]
	v_fma_f64 v[90:91], v[14:15], v[187:188], v[8:9]
	v_mul_f64 v[8:9], v[14:15], v[189:190]
	v_add_f64 v[14:15], v[140:141], v[16:17]
	v_fma_f64 v[96:97], v[66:67], v[187:188], -v[8:9]
	v_mul_f64 v[8:9], v[58:59], v[100:101]
	v_mul_f64 v[30:31], v[14:15], s[10:11]
	;; [unrolled: 1-line block ×4, first 2 shown]
	v_fma_f64 v[106:107], v[10:11], v[98:99], v[8:9]
	v_mul_f64 v[8:9], v[10:11], v[100:101]
	v_add_f64 v[10:11], v[0:1], v[140:141]
	v_fma_f64 v[98:99], v[58:59], v[98:99], -v[8:9]
	v_mul_f64 v[8:9], v[50:51], v[94:95]
	v_add_f64 v[10:11], v[10:11], v[126:127]
	v_fma_f64 v[136:137], v[18:19], v[92:93], v[8:9]
	v_mul_f64 v[8:9], v[18:19], v[94:95]
	v_add_f64 v[10:11], v[10:11], v[120:121]
	v_add_f64 v[18:19], v[138:139], -v[142:143]
	v_mul_f64 v[94:95], v[14:15], s[22:23]
	v_fma_f64 v[50:51], v[50:51], v[92:93], -v[8:9]
	v_add_f64 v[8:9], v[4:5], v[138:139]
	v_add_f64 v[10:11], v[10:11], v[116:117]
	v_fma_f64 v[58:59], v[18:19], s[6:7], v[30:31]
	v_fma_f64 v[30:31], v[18:19], s[4:5], v[30:31]
	;; [unrolled: 1-line block ×8, first 2 shown]
	v_add_f64 v[8:9], v[8:9], v[124:125]
	v_add_f64 v[10:11], v[10:11], v[112:113]
	;; [unrolled: 1-line block ×24, first 2 shown]
	v_add_f64 v[16:17], v[140:141], -v[16:17]
	v_add_f64 v[10:11], v[138:139], v[142:143]
	v_add_f64 v[8:9], v[8:9], v[68:69]
	v_mul_f64 v[22:23], v[16:17], s[4:5]
	v_mul_f64 v[62:63], v[16:17], s[12:13]
	;; [unrolled: 1-line block ×6, first 2 shown]
	v_add_f64 v[8:9], v[8:9], v[64:65]
	v_fma_f64 v[26:27], v[10:11], s[10:11], v[22:23]
	v_fma_f64 v[22:23], v[10:11], s[10:11], -v[22:23]
	v_fma_f64 v[66:67], v[10:11], s[16:17], v[62:63]
	v_fma_f64 v[62:63], v[10:11], s[16:17], -v[62:63]
	;; [unrolled: 2-line block ×6, first 2 shown]
	v_add_f64 v[16:17], v[124:125], -v[64:65]
	v_add_f64 v[8:9], v[8:9], v[142:143]
	v_mul_f64 v[142:143], v[14:15], s[28:29]
	v_mul_f64 v[14:15], v[14:15], s[40:41]
	v_add_f64 v[26:27], v[4:5], v[26:27]
	v_add_f64 v[22:23], v[4:5], v[22:23]
	;; [unrolled: 1-line block ×12, first 2 shown]
	v_fma_f64 v[148:149], v[18:19], s[26:27], v[142:143]
	v_fma_f64 v[142:143], v[18:19], s[24:25], v[142:143]
	;; [unrolled: 1-line block ×4, first 2 shown]
	v_add_f64 v[18:19], v[126:127], -v[134:135]
	v_add_f64 v[14:15], v[126:127], v[134:135]
	v_add_f64 v[148:149], v[0:1], v[148:149]
	;; [unrolled: 1-line block ×6, first 2 shown]
	v_mul_f64 v[64:65], v[18:19], s[12:13]
	v_fma_f64 v[124:125], v[10:11], s[16:17], v[64:65]
	v_fma_f64 v[64:65], v[10:11], s[16:17], -v[64:65]
	v_add_f64 v[26:27], v[124:125], v[26:27]
	v_mul_f64 v[124:125], v[14:15], s[16:17]
	v_add_f64 v[22:23], v[64:65], v[22:23]
	v_fma_f64 v[64:65], v[16:17], s[12:13], v[124:125]
	v_fma_f64 v[126:127], v[16:17], s[14:15], v[124:125]
	v_add_f64 v[30:31], v[64:65], v[30:31]
	v_mul_f64 v[64:65], v[18:19], s[24:25]
	v_add_f64 v[58:59], v[126:127], v[58:59]
	v_fma_f64 v[124:125], v[10:11], s[28:29], v[64:65]
	v_fma_f64 v[64:65], v[10:11], s[28:29], -v[64:65]
	v_add_f64 v[66:67], v[124:125], v[66:67]
	v_mul_f64 v[124:125], v[14:15], s[28:29]
	v_add_f64 v[62:63], v[64:65], v[62:63]
	v_fma_f64 v[64:65], v[16:17], s[24:25], v[124:125]
	v_fma_f64 v[126:127], v[16:17], s[26:27], v[124:125]
	v_add_f64 v[64:65], v[64:65], v[70:71]
	v_mul_f64 v[70:71], v[18:19], s[38:39]
	v_add_f64 v[74:75], v[126:127], v[74:75]
	v_fma_f64 v[124:125], v[10:11], s[40:41], v[70:71]
	v_fma_f64 v[70:71], v[10:11], s[40:41], -v[70:71]
	v_add_f64 v[92:93], v[124:125], v[92:93]
	v_mul_f64 v[124:125], v[14:15], s[40:41]
	v_add_f64 v[70:71], v[70:71], v[78:79]
	v_fma_f64 v[78:79], v[16:17], s[38:39], v[124:125]
	v_fma_f64 v[126:127], v[16:17], s[42:43], v[124:125]
	v_add_f64 v[78:79], v[78:79], v[94:95]
	v_mul_f64 v[94:95], v[18:19], s[34:35]
	v_add_f64 v[100:101], v[126:127], v[100:101]
	v_mul_f64 v[126:127], v[14:15], s[36:37]
	v_fma_f64 v[124:125], v[10:11], s[36:37], v[94:95]
	v_fma_f64 v[94:95], v[10:11], s[36:37], -v[94:95]
	v_fma_f64 v[134:135], v[16:17], s[30:31], v[126:127]
	v_fma_f64 v[126:127], v[16:17], s[34:35], v[126:127]
	v_add_f64 v[124:125], v[124:125], v[140:141]
	v_add_f64 v[94:95], v[94:95], v[138:139]
	v_mul_f64 v[138:139], v[18:19], s[20:21]
	v_mul_f64 v[18:19], v[18:19], s[6:7]
	v_add_f64 v[126:127], v[126:127], v[142:143]
	v_mul_f64 v[142:143], v[14:15], s[22:23]
	v_mul_f64 v[14:15], v[14:15], s[10:11]
	v_add_f64 v[134:135], v[134:135], v[148:149]
	v_fma_f64 v[140:141], v[10:11], s[22:23], v[138:139]
	v_fma_f64 v[138:139], v[10:11], s[22:23], -v[138:139]
	v_fma_f64 v[148:149], v[16:17], s[18:19], v[142:143]
	v_fma_f64 v[142:143], v[16:17], s[20:21], v[142:143]
	v_add_f64 v[140:141], v[140:141], v[152:153]
	v_add_f64 v[138:139], v[138:139], v[150:151]
	v_fma_f64 v[150:151], v[10:11], s[10:11], v[18:19]
	v_fma_f64 v[10:11], v[10:11], s[10:11], -v[18:19]
	v_fma_f64 v[152:153], v[16:17], s[4:5], v[14:15]
	v_add_f64 v[142:143], v[142:143], v[154:155]
	v_add_f64 v[148:149], v[148:149], v[156:157]
	;; [unrolled: 1-line block ×4, first 2 shown]
	v_fma_f64 v[10:11], v[16:17], s[6:7], v[14:15]
	v_add_f64 v[14:15], v[120:121], v[12:13]
	v_add_f64 v[12:13], v[120:121], -v[12:13]
	v_add_f64 v[16:17], v[118:119], -v[68:69]
	v_add_f64 v[152:153], v[152:153], v[160:161]
	v_add_f64 v[0:1], v[10:11], v[0:1]
	;; [unrolled: 1-line block ×3, first 2 shown]
	v_mul_f64 v[18:19], v[12:13], s[18:19]
	v_fma_f64 v[68:69], v[10:11], s[22:23], v[18:19]
	v_fma_f64 v[18:19], v[10:11], s[22:23], -v[18:19]
	v_add_f64 v[26:27], v[68:69], v[26:27]
	v_mul_f64 v[68:69], v[14:15], s[22:23]
	v_add_f64 v[18:19], v[18:19], v[22:23]
	v_fma_f64 v[22:23], v[16:17], s[18:19], v[68:69]
	v_fma_f64 v[118:119], v[16:17], s[20:21], v[68:69]
	v_add_f64 v[22:23], v[22:23], v[30:31]
	v_mul_f64 v[30:31], v[12:13], s[38:39]
	v_add_f64 v[58:59], v[118:119], v[58:59]
	v_fma_f64 v[68:69], v[10:11], s[40:41], v[30:31]
	v_fma_f64 v[30:31], v[10:11], s[40:41], -v[30:31]
	v_add_f64 v[66:67], v[68:69], v[66:67]
	v_mul_f64 v[68:69], v[14:15], s[40:41]
	v_add_f64 v[30:31], v[30:31], v[62:63]
	v_fma_f64 v[62:63], v[16:17], s[38:39], v[68:69]
	v_fma_f64 v[118:119], v[16:17], s[42:43], v[68:69]
	v_add_f64 v[62:63], v[62:63], v[64:65]
	v_mul_f64 v[64:65], v[12:13], s[26:27]
	v_add_f64 v[74:75], v[118:119], v[74:75]
	;; [unrolled: 10-line block ×3, first 2 shown]
	v_mul_f64 v[118:119], v[14:15], s[10:11]
	v_fma_f64 v[92:93], v[10:11], s[10:11], v[78:79]
	v_fma_f64 v[78:79], v[10:11], s[10:11], -v[78:79]
	v_fma_f64 v[120:121], v[16:17], s[4:5], v[118:119]
	v_add_f64 v[92:93], v[92:93], v[124:125]
	v_add_f64 v[78:79], v[78:79], v[94:95]
	v_fma_f64 v[94:95], v[16:17], s[6:7], v[118:119]
	v_mul_f64 v[118:119], v[12:13], s[12:13]
	v_mul_f64 v[12:13], v[12:13], s[30:31]
	v_add_f64 v[120:121], v[120:121], v[134:135]
	v_add_f64 v[94:95], v[94:95], v[126:127]
	v_fma_f64 v[124:125], v[10:11], s[16:17], v[118:119]
	v_fma_f64 v[118:119], v[10:11], s[16:17], -v[118:119]
	v_mul_f64 v[126:127], v[14:15], s[16:17]
	v_mul_f64 v[14:15], v[14:15], s[36:37]
	v_add_f64 v[124:125], v[124:125], v[140:141]
	v_add_f64 v[118:119], v[118:119], v[138:139]
	v_fma_f64 v[138:139], v[10:11], s[36:37], v[12:13]
	v_fma_f64 v[10:11], v[10:11], s[36:37], -v[12:13]
	v_fma_f64 v[134:135], v[16:17], s[14:15], v[126:127]
	v_fma_f64 v[126:127], v[16:17], s[12:13], v[126:127]
	;; [unrolled: 1-line block ×3, first 2 shown]
	v_add_f64 v[12:13], v[116:117], v[20:21]
	v_add_f64 v[138:139], v[138:139], v[150:151]
	v_add_f64 v[4:5], v[10:11], v[4:5]
	v_fma_f64 v[10:11], v[16:17], s[30:31], v[14:15]
	v_add_f64 v[16:17], v[116:117], -v[20:21]
	v_add_f64 v[14:15], v[114:115], -v[72:73]
	v_mul_f64 v[116:117], v[12:13], s[40:41]
	v_add_f64 v[126:127], v[126:127], v[142:143]
	v_add_f64 v[134:135], v[134:135], v[148:149]
	;; [unrolled: 1-line block ×5, first 2 shown]
	v_mul_f64 v[20:21], v[16:17], s[24:25]
	v_fma_f64 v[72:73], v[10:11], s[28:29], v[20:21]
	v_fma_f64 v[20:21], v[10:11], s[28:29], -v[20:21]
	v_add_f64 v[26:27], v[72:73], v[26:27]
	v_mul_f64 v[72:73], v[12:13], s[28:29]
	v_add_f64 v[18:19], v[20:21], v[18:19]
	v_fma_f64 v[20:21], v[14:15], s[24:25], v[72:73]
	v_fma_f64 v[114:115], v[14:15], s[26:27], v[72:73]
	v_add_f64 v[20:21], v[20:21], v[22:23]
	v_mul_f64 v[22:23], v[16:17], s[34:35]
	v_add_f64 v[58:59], v[114:115], v[58:59]
	v_fma_f64 v[72:73], v[10:11], s[36:37], v[22:23]
	v_fma_f64 v[22:23], v[10:11], s[36:37], -v[22:23]
	v_add_f64 v[66:67], v[72:73], v[66:67]
	v_mul_f64 v[72:73], v[12:13], s[36:37]
	v_add_f64 v[22:23], v[22:23], v[30:31]
	v_fma_f64 v[30:31], v[14:15], s[34:35], v[72:73]
	v_fma_f64 v[114:115], v[14:15], s[30:31], v[72:73]
	v_add_f64 v[30:31], v[30:31], v[62:63]
	v_mul_f64 v[62:63], v[16:17], s[6:7]
	v_add_f64 v[74:75], v[114:115], v[74:75]
	;; [unrolled: 10-line block ×3, first 2 shown]
	v_fma_f64 v[72:73], v[10:11], s[22:23], v[70:71]
	v_fma_f64 v[70:71], v[10:11], s[22:23], -v[70:71]
	v_add_f64 v[72:73], v[72:73], v[92:93]
	v_mul_f64 v[92:93], v[12:13], s[22:23]
	v_add_f64 v[70:71], v[70:71], v[78:79]
	v_mul_f64 v[12:13], v[12:13], s[16:17]
	v_fma_f64 v[114:115], v[14:15], s[20:21], v[92:93]
	v_fma_f64 v[78:79], v[14:15], s[18:19], v[92:93]
	v_mul_f64 v[92:93], v[16:17], s[42:43]
	v_mul_f64 v[16:17], v[16:17], s[14:15]
	v_add_f64 v[114:115], v[114:115], v[120:121]
	v_add_f64 v[78:79], v[78:79], v[94:95]
	v_fma_f64 v[94:95], v[10:11], s[40:41], v[92:93]
	v_fma_f64 v[92:93], v[10:11], s[40:41], -v[92:93]
	v_fma_f64 v[120:121], v[14:15], s[38:39], v[116:117]
	v_fma_f64 v[116:117], v[14:15], s[42:43], v[116:117]
	v_add_f64 v[94:95], v[94:95], v[124:125]
	v_add_f64 v[92:93], v[92:93], v[118:119]
	v_fma_f64 v[118:119], v[10:11], s[16:17], v[16:17]
	v_fma_f64 v[10:11], v[10:11], s[16:17], -v[16:17]
	v_add_f64 v[16:17], v[112:113], -v[24:25]
	v_fma_f64 v[124:125], v[14:15], s[12:13], v[12:13]
	v_add_f64 v[116:117], v[116:117], v[126:127]
	v_add_f64 v[120:121], v[120:121], v[134:135]
	;; [unrolled: 1-line block ×6, first 2 shown]
	v_fma_f64 v[10:11], v[14:15], s[14:15], v[12:13]
	v_add_f64 v[12:13], v[112:113], v[24:25]
	v_mul_f64 v[24:25], v[16:17], s[30:31]
	v_add_f64 v[14:15], v[110:111], -v[76:77]
	v_add_f64 v[124:125], v[124:125], v[140:141]
	v_add_f64 v[140:141], v[32:33], -v[28:29]
	v_add_f64 v[138:139], v[60:61], -v[80:81]
	v_add_f64 v[0:1], v[10:11], v[0:1]
	v_add_f64 v[10:11], v[110:111], v[76:77]
	v_fma_f64 v[76:77], v[10:11], s[36:37], v[24:25]
	v_fma_f64 v[24:25], v[10:11], s[36:37], -v[24:25]
	v_add_f64 v[26:27], v[76:77], v[26:27]
	v_mul_f64 v[76:77], v[12:13], s[36:37]
	v_add_f64 v[18:19], v[24:25], v[18:19]
	v_fma_f64 v[24:25], v[14:15], s[30:31], v[76:77]
	v_fma_f64 v[110:111], v[14:15], s[34:35], v[76:77]
	v_add_f64 v[20:21], v[24:25], v[20:21]
	v_mul_f64 v[24:25], v[16:17], s[20:21]
	v_add_f64 v[58:59], v[110:111], v[58:59]
	v_fma_f64 v[76:77], v[10:11], s[22:23], v[24:25]
	v_fma_f64 v[24:25], v[10:11], s[22:23], -v[24:25]
	v_add_f64 v[66:67], v[76:77], v[66:67]
	v_mul_f64 v[76:77], v[12:13], s[22:23]
	v_add_f64 v[22:23], v[24:25], v[22:23]
	v_fma_f64 v[24:25], v[14:15], s[20:21], v[76:77]
	v_fma_f64 v[110:111], v[14:15], s[18:19], v[76:77]
	v_add_f64 v[24:25], v[24:25], v[30:31]
	v_mul_f64 v[30:31], v[16:17], s[12:13]
	;; [unrolled: 10-line block ×4, first 2 shown]
	v_mul_f64 v[16:17], v[16:17], s[24:25]
	v_add_f64 v[110:111], v[110:111], v[114:115]
	v_fma_f64 v[76:77], v[10:11], s[10:11], v[30:31]
	v_fma_f64 v[30:31], v[10:11], s[10:11], -v[30:31]
	v_add_f64 v[94:95], v[76:77], v[94:95]
	v_mul_f64 v[76:77], v[12:13], s[10:11]
	v_add_f64 v[92:93], v[30:31], v[92:93]
	v_mul_f64 v[12:13], v[12:13], s[28:29]
	v_fma_f64 v[30:31], v[14:15], s[6:7], v[76:77]
	v_fma_f64 v[78:79], v[14:15], s[4:5], v[76:77]
	v_add_f64 v[116:117], v[30:31], v[116:117]
	v_fma_f64 v[30:31], v[10:11], s[28:29], v[16:17]
	v_fma_f64 v[10:11], v[10:11], s[28:29], -v[16:17]
	v_add_f64 v[114:115], v[78:79], v[120:121]
	v_add_f64 v[118:119], v[30:31], v[118:119]
	v_fma_f64 v[30:31], v[14:15], s[26:27], v[12:13]
	v_add_f64 v[10:11], v[10:11], v[4:5]
	v_fma_f64 v[4:5], v[14:15], s[24:25], v[12:13]
	v_mul_f64 v[12:13], v[134:135], s[40:41]
	v_add_f64 v[120:121], v[30:31], v[124:125]
	v_add_f64 v[124:125], v[4:5], v[0:1]
	v_mul_f64 v[0:1], v[140:141], s[38:39]
	v_fma_f64 v[4:5], v[126:127], s[40:41], v[0:1]
	v_fma_f64 v[0:1], v[126:127], s[40:41], -v[0:1]
	v_add_f64 v[30:31], v[4:5], v[26:27]
	v_fma_f64 v[4:5], v[138:139], s[42:43], v[12:13]
	v_add_f64 v[80:81], v[4:5], v[58:59]
	v_add_f64 v[4:5], v[0:1], v[18:19]
	v_fma_f64 v[0:1], v[138:139], s[38:39], v[12:13]
	v_mul_f64 v[12:13], v[140:141], s[6:7]
	v_mul_f64 v[58:59], v[134:135], s[22:23]
	v_add_f64 v[0:1], v[0:1], v[20:21]
	v_fma_f64 v[14:15], v[126:127], s[10:11], v[12:13]
	v_fma_f64 v[12:13], v[126:127], s[10:11], -v[12:13]
	v_add_f64 v[28:29], v[14:15], v[66:67]
	v_mul_f64 v[14:15], v[134:135], s[10:11]
	v_add_f64 v[12:13], v[12:13], v[22:23]
	v_fma_f64 v[16:17], v[138:139], s[4:5], v[14:15]
	v_fma_f64 v[14:15], v[138:139], s[6:7], v[14:15]
	v_add_f64 v[76:77], v[16:17], v[74:75]
	v_add_f64 v[60:61], v[14:15], v[24:25]
	v_mul_f64 v[14:15], v[140:141], s[30:31]
	v_fma_f64 v[16:17], v[126:127], s[36:37], v[14:15]
	v_fma_f64 v[14:15], v[126:127], s[36:37], -v[14:15]
	v_add_f64 v[32:33], v[16:17], v[68:69]
	v_mul_f64 v[16:17], v[134:135], s[36:37]
	v_add_f64 v[14:15], v[14:15], v[62:63]
	v_fma_f64 v[68:69], v[138:139], s[18:19], v[58:59]
	v_fma_f64 v[18:19], v[138:139], s[34:35], v[16:17]
	;; [unrolled: 1-line block ×3, first 2 shown]
	v_add_f64 v[68:69], v[68:69], v[120:121]
	v_add_f64 v[78:79], v[18:19], v[100:101]
	;; [unrolled: 1-line block ×3, first 2 shown]
	v_mul_f64 v[16:17], v[140:141], s[14:15]
	v_add_f64 v[100:101], v[108:109], v[50:51]
	v_fma_f64 v[18:19], v[126:127], s[16:17], v[16:17]
	v_fma_f64 v[16:17], v[126:127], s[16:17], -v[16:17]
	v_mul_f64 v[120:121], v[100:101], s[16:17]
	v_mul_f64 v[142:143], v[100:101], s[28:29]
	;; [unrolled: 1-line block ×3, first 2 shown]
	v_add_f64 v[24:25], v[18:19], v[72:73]
	v_mul_f64 v[18:19], v[134:135], s[16:17]
	v_add_f64 v[16:17], v[16:17], v[70:71]
	v_fma_f64 v[20:21], v[138:139], s[12:13], v[18:19]
	v_fma_f64 v[18:19], v[138:139], s[14:15], v[18:19]
	v_add_f64 v[72:73], v[20:21], v[110:111]
	v_add_f64 v[64:65], v[18:19], v[112:113]
	v_mul_f64 v[18:19], v[140:141], s[24:25]
	v_mul_f64 v[112:113], v[100:101], s[10:11]
	v_fma_f64 v[20:21], v[126:127], s[28:29], v[18:19]
	v_fma_f64 v[18:19], v[126:127], s[28:29], -v[18:19]
	v_add_f64 v[26:27], v[20:21], v[94:95]
	v_mul_f64 v[20:21], v[134:135], s[28:29]
	v_add_f64 v[18:19], v[18:19], v[92:93]
	v_add_f64 v[94:95], v[122:123], v[136:137]
	v_add_f64 v[92:93], v[122:123], -v[136:137]
	v_mul_f64 v[134:135], v[100:101], s[22:23]
	v_mul_f64 v[100:101], v[100:101], s[40:41]
	v_fma_f64 v[22:23], v[138:139], s[26:27], v[20:21]
	v_fma_f64 v[20:21], v[138:139], s[24:25], v[20:21]
	;; [unrolled: 1-line block ×7, first 2 shown]
	v_add_f64 v[74:75], v[22:23], v[114:115]
	v_mul_f64 v[22:23], v[140:141], s[20:21]
	v_add_f64 v[66:67], v[20:21], v[116:117]
	v_fma_f64 v[116:117], v[92:93], s[14:15], v[120:121]
	v_fma_f64 v[120:121], v[92:93], s[12:13], v[120:121]
	v_add_f64 v[148:149], v[2:3], v[148:149]
	v_add_f64 v[142:143], v[2:3], v[142:143]
	;; [unrolled: 1-line block ×5, first 2 shown]
	v_fma_f64 v[20:21], v[126:127], s[22:23], v[22:23]
	v_fma_f64 v[22:23], v[126:127], s[22:23], -v[22:23]
	v_add_f64 v[116:117], v[2:3], v[116:117]
	v_add_f64 v[120:121], v[2:3], v[120:121]
	;; [unrolled: 1-line block ×4, first 2 shown]
	v_fma_f64 v[10:11], v[138:139], s[20:21], v[58:59]
	v_add_f64 v[58:59], v[2:3], v[108:109]
	v_add_f64 v[70:71], v[10:11], v[124:125]
	v_add_f64 v[10:11], v[6:7], v[122:123]
	v_add_f64 v[58:59], v[58:59], v[104:105]
	v_add_f64 v[122:123], v[108:109], -v[50:51]
	v_fma_f64 v[108:109], v[92:93], s[6:7], v[112:113]
	v_fma_f64 v[112:113], v[92:93], s[4:5], v[112:113]
	v_add_f64 v[10:11], v[10:11], v[102:103]
	v_add_f64 v[58:59], v[58:59], v[88:89]
	v_mul_f64 v[110:111], v[122:123], s[4:5]
	v_mul_f64 v[118:119], v[122:123], s[12:13]
	;; [unrolled: 1-line block ×6, first 2 shown]
	v_add_f64 v[108:109], v[2:3], v[108:109]
	v_add_f64 v[112:113], v[2:3], v[112:113]
	;; [unrolled: 1-line block ×4, first 2 shown]
	v_fma_f64 v[114:115], v[94:95], s[16:17], v[118:119]
	v_fma_f64 v[118:119], v[94:95], s[16:17], -v[118:119]
	v_fma_f64 v[126:127], v[94:95], s[22:23], v[124:125]
	v_fma_f64 v[124:125], v[94:95], s[22:23], -v[124:125]
	;; [unrolled: 2-line block ×4, first 2 shown]
	v_fma_f64 v[158:159], v[94:95], s[40:41], v[122:123]
	v_add_f64 v[10:11], v[10:11], v[46:47]
	v_add_f64 v[58:59], v[58:59], v[44:45]
	;; [unrolled: 1-line block ×25, first 2 shown]
	v_fma_f64 v[50:51], v[94:95], s[10:11], v[110:111]
	v_fma_f64 v[110:111], v[94:95], s[10:11], -v[110:111]
	v_fma_f64 v[94:95], v[94:95], s[40:41], -v[122:123]
	v_add_f64 v[10:11], v[10:11], v[136:137]
	v_fma_f64 v[136:137], v[92:93], s[20:21], v[134:135]
	v_add_f64 v[50:51], v[6:7], v[50:51]
	v_add_f64 v[110:111], v[6:7], v[110:111]
	v_fma_f64 v[134:135], v[92:93], s[18:19], v[134:135]
	v_add_f64 v[6:7], v[6:7], v[94:95]
	v_fma_f64 v[92:93], v[92:93], s[38:39], v[100:101]
	v_add_f64 v[94:95], v[104:105], v[98:99]
	v_add_f64 v[98:99], v[104:105], -v[98:99]
	v_add_f64 v[100:101], v[102:103], -v[106:107]
	v_add_f64 v[136:137], v[2:3], v[136:137]
	v_add_f64 v[134:135], v[2:3], v[134:135]
	;; [unrolled: 1-line block ×4, first 2 shown]
	v_mul_f64 v[102:103], v[98:99], s[12:13]
	v_fma_f64 v[104:105], v[92:93], s[16:17], v[102:103]
	v_fma_f64 v[102:103], v[92:93], s[16:17], -v[102:103]
	v_add_f64 v[50:51], v[104:105], v[50:51]
	v_mul_f64 v[104:105], v[94:95], s[16:17]
	v_add_f64 v[102:103], v[102:103], v[110:111]
	v_fma_f64 v[106:107], v[100:101], s[14:15], v[104:105]
	v_fma_f64 v[104:105], v[100:101], s[12:13], v[104:105]
	v_add_f64 v[106:107], v[106:107], v[108:109]
	v_mul_f64 v[108:109], v[98:99], s[24:25]
	v_add_f64 v[104:105], v[104:105], v[112:113]
	v_mul_f64 v[112:113], v[94:95], s[28:29]
	v_fma_f64 v[110:111], v[92:93], s[28:29], v[108:109]
	v_fma_f64 v[108:109], v[92:93], s[28:29], -v[108:109]
	v_add_f64 v[110:111], v[110:111], v[114:115]
	v_fma_f64 v[114:115], v[100:101], s[26:27], v[112:113]
	v_add_f64 v[108:109], v[108:109], v[118:119]
	v_fma_f64 v[112:113], v[100:101], s[24:25], v[112:113]
	v_add_f64 v[114:115], v[114:115], v[116:117]
	v_mul_f64 v[116:117], v[98:99], s[38:39]
	v_add_f64 v[112:113], v[112:113], v[120:121]
	v_mul_f64 v[120:121], v[94:95], s[40:41]
	v_fma_f64 v[118:119], v[92:93], s[40:41], v[116:117]
	v_fma_f64 v[116:117], v[92:93], s[40:41], -v[116:117]
	v_fma_f64 v[122:123], v[100:101], s[42:43], v[120:121]
	v_fma_f64 v[120:121], v[100:101], s[38:39], v[120:121]
	v_add_f64 v[118:119], v[118:119], v[126:127]
	v_add_f64 v[116:117], v[116:117], v[124:125]
	v_mul_f64 v[124:125], v[98:99], s[34:35]
	v_add_f64 v[120:121], v[120:121], v[134:135]
	v_mul_f64 v[134:135], v[94:95], s[36:37]
	v_add_f64 v[122:123], v[122:123], v[136:137]
	v_fma_f64 v[126:127], v[92:93], s[36:37], v[124:125]
	v_fma_f64 v[124:125], v[92:93], s[36:37], -v[124:125]
	v_fma_f64 v[136:137], v[100:101], s[30:31], v[134:135]
	v_fma_f64 v[134:135], v[100:101], s[34:35], v[134:135]
	v_add_f64 v[126:127], v[126:127], v[140:141]
	v_add_f64 v[124:125], v[124:125], v[138:139]
	v_mul_f64 v[138:139], v[98:99], s[20:21]
	v_mul_f64 v[98:99], v[98:99], s[6:7]
	v_add_f64 v[134:135], v[134:135], v[142:143]
	v_mul_f64 v[142:143], v[94:95], s[22:23]
	v_mul_f64 v[94:95], v[94:95], s[10:11]
	v_add_f64 v[136:137], v[136:137], v[148:149]
	v_fma_f64 v[140:141], v[92:93], s[22:23], v[138:139]
	v_fma_f64 v[138:139], v[92:93], s[22:23], -v[138:139]
	v_fma_f64 v[148:149], v[100:101], s[18:19], v[142:143]
	v_fma_f64 v[142:143], v[100:101], s[20:21], v[142:143]
	v_add_f64 v[140:141], v[140:141], v[152:153]
	v_add_f64 v[138:139], v[138:139], v[150:151]
	v_fma_f64 v[150:151], v[92:93], s[10:11], v[98:99]
	v_fma_f64 v[92:93], v[92:93], s[10:11], -v[98:99]
	v_fma_f64 v[152:153], v[100:101], s[4:5], v[94:95]
	v_add_f64 v[142:143], v[142:143], v[154:155]
	v_add_f64 v[148:149], v[148:149], v[156:157]
	;; [unrolled: 1-line block ×4, first 2 shown]
	v_fma_f64 v[92:93], v[100:101], s[6:7], v[94:95]
	v_add_f64 v[94:95], v[88:89], v[96:97]
	v_add_f64 v[88:89], v[88:89], -v[96:97]
	v_add_f64 v[152:153], v[152:153], v[160:161]
	v_cndmask_b32_e64 v160, v175, v130, s0
	v_add_f64 v[2:3], v[92:93], v[2:3]
	v_add_f64 v[92:93], v[84:85], v[90:91]
	v_add_f64 v[84:85], v[84:85], -v[90:91]
	v_mul_f64 v[90:91], v[88:89], s[18:19]
	v_mul_f64 v[100:101], v[88:89], s[38:39]
	v_fma_f64 v[96:97], v[92:93], s[22:23], v[90:91]
	v_fma_f64 v[90:91], v[92:93], s[22:23], -v[90:91]
	v_add_f64 v[50:51], v[96:97], v[50:51]
	v_mul_f64 v[96:97], v[94:95], s[22:23]
	v_add_f64 v[90:91], v[90:91], v[102:103]
	v_fma_f64 v[102:103], v[92:93], s[40:41], v[100:101]
	v_fma_f64 v[100:101], v[92:93], s[40:41], -v[100:101]
	v_fma_f64 v[98:99], v[84:85], s[20:21], v[96:97]
	v_fma_f64 v[96:97], v[84:85], s[18:19], v[96:97]
	v_add_f64 v[102:103], v[102:103], v[110:111]
	v_add_f64 v[100:101], v[100:101], v[108:109]
	v_mul_f64 v[108:109], v[88:89], s[26:27]
	v_add_f64 v[98:99], v[98:99], v[106:107]
	v_add_f64 v[96:97], v[96:97], v[104:105]
	v_mul_f64 v[104:105], v[94:95], s[40:41]
	v_fma_f64 v[110:111], v[92:93], s[28:29], v[108:109]
	v_fma_f64 v[108:109], v[92:93], s[28:29], -v[108:109]
	v_fma_f64 v[106:107], v[84:85], s[42:43], v[104:105]
	v_fma_f64 v[104:105], v[84:85], s[38:39], v[104:105]
	v_add_f64 v[110:111], v[110:111], v[118:119]
	v_add_f64 v[108:109], v[108:109], v[116:117]
	v_mul_f64 v[116:117], v[88:89], s[6:7]
	v_add_f64 v[106:107], v[106:107], v[114:115]
	v_add_f64 v[104:105], v[104:105], v[112:113]
	v_mul_f64 v[112:113], v[94:95], s[28:29]
	v_fma_f64 v[118:119], v[92:93], s[10:11], v[116:117]
	v_fma_f64 v[116:117], v[92:93], s[10:11], -v[116:117]
	v_fma_f64 v[114:115], v[84:85], s[24:25], v[112:113]
	v_fma_f64 v[112:113], v[84:85], s[26:27], v[112:113]
	v_add_f64 v[118:119], v[118:119], v[126:127]
	v_add_f64 v[116:117], v[116:117], v[124:125]
	v_mul_f64 v[124:125], v[88:89], s[12:13]
	v_mul_f64 v[88:89], v[88:89], s[30:31]
	v_add_f64 v[114:115], v[114:115], v[122:123]
	v_add_f64 v[112:113], v[112:113], v[120:121]
	v_mul_f64 v[120:121], v[94:95], s[10:11]
	v_fma_f64 v[126:127], v[92:93], s[16:17], v[124:125]
	v_fma_f64 v[124:125], v[92:93], s[16:17], -v[124:125]
	v_fma_f64 v[122:123], v[84:85], s[4:5], v[120:121]
	v_fma_f64 v[120:121], v[84:85], s[6:7], v[120:121]
	v_add_f64 v[126:127], v[126:127], v[140:141]
	v_add_f64 v[124:125], v[124:125], v[138:139]
	v_fma_f64 v[138:139], v[92:93], s[36:37], v[88:89]
	v_fma_f64 v[88:89], v[92:93], s[36:37], -v[88:89]
	v_add_f64 v[122:123], v[122:123], v[136:137]
	v_add_f64 v[120:121], v[120:121], v[134:135]
	v_mul_f64 v[134:135], v[94:95], s[16:17]
	v_mul_f64 v[94:95], v[94:95], s[36:37]
	v_add_f64 v[138:139], v[138:139], v[150:151]
	v_add_f64 v[6:7], v[88:89], v[6:7]
	;; [unrolled: 1-line block ×3, first 2 shown]
	v_add_f64 v[48:49], v[48:49], -v[86:87]
	v_fma_f64 v[136:137], v[84:85], s[14:15], v[134:135]
	v_fma_f64 v[134:135], v[84:85], s[12:13], v[134:135]
	v_fma_f64 v[140:141], v[84:85], s[34:35], v[94:95]
	v_fma_f64 v[84:85], v[84:85], s[30:31], v[94:95]
	v_add_f64 v[136:137], v[136:137], v[148:149]
	v_add_f64 v[134:135], v[134:135], v[142:143]
	;; [unrolled: 1-line block ×5, first 2 shown]
	v_add_f64 v[46:47], v[46:47], -v[82:83]
	v_mul_f64 v[82:83], v[48:49], s[24:25]
	v_fma_f64 v[86:87], v[84:85], s[28:29], v[82:83]
	v_fma_f64 v[82:83], v[84:85], s[28:29], -v[82:83]
	v_add_f64 v[50:51], v[86:87], v[50:51]
	v_mul_f64 v[86:87], v[88:89], s[28:29]
	v_add_f64 v[82:83], v[82:83], v[90:91]
	v_mul_f64 v[90:91], v[48:49], s[34:35]
	v_fma_f64 v[92:93], v[46:47], s[26:27], v[86:87]
	v_fma_f64 v[86:87], v[46:47], s[24:25], v[86:87]
	v_fma_f64 v[94:95], v[84:85], s[36:37], v[90:91]
	v_fma_f64 v[90:91], v[84:85], s[36:37], -v[90:91]
	v_add_f64 v[92:93], v[92:93], v[98:99]
	v_add_f64 v[86:87], v[86:87], v[96:97]
	v_mul_f64 v[96:97], v[88:89], s[36:37]
	v_add_f64 v[90:91], v[90:91], v[100:101]
	v_mul_f64 v[100:101], v[48:49], s[6:7]
	v_add_f64 v[94:95], v[94:95], v[102:103]
	v_fma_f64 v[98:99], v[46:47], s[30:31], v[96:97]
	v_fma_f64 v[96:97], v[46:47], s[34:35], v[96:97]
	v_fma_f64 v[102:103], v[84:85], s[10:11], v[100:101]
	v_fma_f64 v[100:101], v[84:85], s[10:11], -v[100:101]
	v_add_f64 v[98:99], v[98:99], v[106:107]
	v_add_f64 v[96:97], v[96:97], v[104:105]
	v_mul_f64 v[104:105], v[88:89], s[10:11]
	v_add_f64 v[100:101], v[100:101], v[108:109]
	v_mul_f64 v[108:109], v[48:49], s[18:19]
	v_add_f64 v[102:103], v[102:103], v[110:111]
	;; [unrolled: 10-line block ×3, first 2 shown]
	v_mul_f64 v[48:49], v[48:49], s[14:15]
	v_fma_f64 v[114:115], v[46:47], s[20:21], v[112:113]
	v_fma_f64 v[112:113], v[46:47], s[18:19], v[112:113]
	v_fma_f64 v[118:119], v[84:85], s[40:41], v[116:117]
	v_fma_f64 v[116:117], v[84:85], s[40:41], -v[116:117]
	v_add_f64 v[114:115], v[114:115], v[122:123]
	v_add_f64 v[112:113], v[112:113], v[120:121]
	v_mul_f64 v[120:121], v[88:89], s[40:41]
	v_add_f64 v[116:117], v[116:117], v[124:125]
	v_fma_f64 v[124:125], v[84:85], s[16:17], v[48:49]
	v_mul_f64 v[88:89], v[88:89], s[16:17]
	v_fma_f64 v[48:49], v[84:85], s[16:17], -v[48:49]
	v_add_f64 v[118:119], v[118:119], v[126:127]
	v_fma_f64 v[122:123], v[46:47], s[38:39], v[120:121]
	v_fma_f64 v[120:121], v[46:47], s[42:43], v[120:121]
	v_add_f64 v[124:125], v[124:125], v[138:139]
	v_fma_f64 v[126:127], v[46:47], s[12:13], v[88:89]
	v_add_f64 v[6:7], v[48:49], v[6:7]
	;; [unrolled: 2-line block ×3, first 2 shown]
	v_add_f64 v[44:45], v[44:45], -v[54:55]
	v_add_f64 v[138:139], v[34:35], v[40:41]
	v_add_f64 v[122:123], v[122:123], v[136:137]
	;; [unrolled: 1-line block ×5, first 2 shown]
	v_add_f64 v[140:141], v[36:37], -v[38:39]
	v_add_f64 v[2:3], v[46:47], v[2:3]
	v_add_f64 v[46:47], v[42:43], v[52:53]
	v_add_f64 v[42:43], v[42:43], -v[52:53]
	v_mul_f64 v[52:53], v[44:45], s[30:31]
	v_mul_f64 v[88:89], v[48:49], s[22:23]
	v_fma_f64 v[54:55], v[46:47], s[36:37], v[52:53]
	v_fma_f64 v[52:53], v[46:47], s[36:37], -v[52:53]
	v_add_f64 v[50:51], v[54:55], v[50:51]
	v_mul_f64 v[54:55], v[48:49], s[36:37]
	v_add_f64 v[52:53], v[52:53], v[82:83]
	v_fma_f64 v[84:85], v[42:43], s[34:35], v[54:55]
	v_fma_f64 v[54:55], v[42:43], s[30:31], v[54:55]
	v_add_f64 v[84:85], v[84:85], v[92:93]
	v_add_f64 v[82:83], v[54:55], v[86:87]
	v_mul_f64 v[54:55], v[44:45], s[20:21]
	v_fma_f64 v[92:93], v[42:43], s[18:19], v[88:89]
	v_fma_f64 v[86:87], v[46:47], s[22:23], v[54:55]
	v_fma_f64 v[54:55], v[46:47], s[22:23], -v[54:55]
	v_add_f64 v[92:93], v[92:93], v[98:99]
	v_add_f64 v[86:87], v[86:87], v[94:95]
	;; [unrolled: 1-line block ×3, first 2 shown]
	v_fma_f64 v[54:55], v[42:43], s[20:21], v[88:89]
	v_add_f64 v[88:89], v[54:55], v[96:97]
	v_mul_f64 v[54:55], v[44:45], s[12:13]
	v_mul_f64 v[96:97], v[48:49], s[16:17]
	v_fma_f64 v[94:95], v[46:47], s[16:17], v[54:55]
	v_fma_f64 v[54:55], v[46:47], s[16:17], -v[54:55]
	v_fma_f64 v[98:99], v[42:43], s[14:15], v[96:97]
	v_add_f64 v[94:95], v[94:95], v[102:103]
	v_add_f64 v[134:135], v[54:55], v[100:101]
	v_fma_f64 v[54:55], v[42:43], s[12:13], v[96:97]
	v_add_f64 v[106:107], v[98:99], v[106:107]
	v_add_f64 v[96:97], v[54:55], v[104:105]
	v_mul_f64 v[54:55], v[44:45], s[42:43]
	v_fma_f64 v[98:99], v[46:47], s[40:41], v[54:55]
	v_fma_f64 v[54:55], v[46:47], s[40:41], -v[54:55]
	v_add_f64 v[104:105], v[98:99], v[110:111]
	v_mul_f64 v[98:99], v[48:49], s[40:41]
	v_add_f64 v[108:109], v[54:55], v[108:109]
	v_fma_f64 v[54:55], v[42:43], s[42:43], v[98:99]
	v_fma_f64 v[100:101], v[42:43], s[38:39], v[98:99]
	v_add_f64 v[112:113], v[54:55], v[112:113]
	v_mul_f64 v[54:55], v[44:45], s[6:7]
	v_add_f64 v[110:111], v[100:101], v[114:115]
	v_mul_f64 v[44:45], v[44:45], s[24:25]
	v_fma_f64 v[98:99], v[46:47], s[10:11], v[54:55]
	v_fma_f64 v[54:55], v[46:47], s[10:11], -v[54:55]
	v_add_f64 v[114:115], v[98:99], v[118:119]
	v_mul_f64 v[98:99], v[48:49], s[10:11]
	v_add_f64 v[116:117], v[54:55], v[116:117]
	v_mul_f64 v[48:49], v[48:49], s[28:29]
	v_fma_f64 v[54:55], v[42:43], s[6:7], v[98:99]
	v_fma_f64 v[100:101], v[42:43], s[4:5], v[98:99]
	v_add_f64 v[120:121], v[54:55], v[120:121]
	v_fma_f64 v[54:55], v[46:47], s[28:29], v[44:45]
	v_fma_f64 v[44:45], v[46:47], s[28:29], -v[44:45]
	v_add_f64 v[118:119], v[100:101], v[122:123]
	v_add_f64 v[122:123], v[54:55], v[124:125]
	v_fma_f64 v[54:55], v[42:43], s[26:27], v[48:49]
	v_add_f64 v[44:45], v[44:45], v[6:7]
	v_fma_f64 v[6:7], v[42:43], s[24:25], v[48:49]
	v_add_f64 v[42:43], v[34:35], -v[40:41]
	v_mul_f64 v[34:35], v[138:139], s[40:41]
	v_add_f64 v[124:125], v[54:55], v[126:127]
	v_add_f64 v[126:127], v[6:7], v[2:3]
	v_mul_f64 v[2:3], v[42:43], s[38:39]
	v_fma_f64 v[6:7], v[136:137], s[40:41], v[2:3]
	v_fma_f64 v[2:3], v[136:137], s[40:41], -v[2:3]
	v_add_f64 v[54:55], v[6:7], v[50:51]
	v_fma_f64 v[6:7], v[140:141], s[42:43], v[34:35]
	v_add_f64 v[102:103], v[6:7], v[84:85]
	v_add_f64 v[6:7], v[2:3], v[52:53]
	v_fma_f64 v[2:3], v[140:141], s[38:39], v[34:35]
	v_mul_f64 v[34:35], v[42:43], s[6:7]
	v_add_f64 v[2:3], v[2:3], v[82:83]
	v_fma_f64 v[36:37], v[136:137], s[10:11], v[34:35]
	v_fma_f64 v[34:35], v[136:137], s[10:11], -v[34:35]
	v_add_f64 v[50:51], v[36:37], v[86:87]
	v_mul_f64 v[36:37], v[138:139], s[10:11]
	v_add_f64 v[34:35], v[34:35], v[90:91]
	v_fma_f64 v[38:39], v[140:141], s[4:5], v[36:37]
	v_fma_f64 v[36:37], v[140:141], s[6:7], v[36:37]
	v_add_f64 v[98:99], v[38:39], v[92:93]
	v_add_f64 v[82:83], v[36:37], v[88:89]
	v_mul_f64 v[36:37], v[42:43], s[30:31]
	v_mul_f64 v[88:89], v[138:139], s[28:29]
	;; [unrolled: 1-line block ×3, first 2 shown]
	v_fma_f64 v[38:39], v[136:137], s[36:37], v[36:37]
	v_fma_f64 v[90:91], v[140:141], s[26:27], v[88:89]
	v_fma_f64 v[36:37], v[136:137], s[36:37], -v[36:37]
	v_fma_f64 v[88:89], v[140:141], s[24:25], v[88:89]
	v_add_f64 v[52:53], v[38:39], v[94:95]
	v_mul_f64 v[38:39], v[138:139], s[36:37]
	v_add_f64 v[36:37], v[36:37], v[134:135]
	v_add_f64 v[88:89], v[88:89], v[120:121]
	v_fma_f64 v[40:41], v[140:141], s[34:35], v[38:39]
	v_fma_f64 v[38:39], v[140:141], s[30:31], v[38:39]
	v_add_f64 v[100:101], v[40:41], v[106:107]
	v_add_f64 v[84:85], v[38:39], v[96:97]
	v_mul_f64 v[38:39], v[42:43], s[14:15]
	v_add_f64 v[96:97], v[90:91], v[118:119]
	v_fma_f64 v[40:41], v[136:137], s[16:17], v[38:39]
	v_fma_f64 v[38:39], v[136:137], s[16:17], -v[38:39]
	v_add_f64 v[46:47], v[40:41], v[104:105]
	v_mul_f64 v[40:41], v[138:139], s[16:17]
	v_mul_f64 v[104:105], v[138:139], s[22:23]
	v_add_f64 v[38:39], v[38:39], v[108:109]
	v_fma_f64 v[48:49], v[140:141], s[12:13], v[40:41]
	v_fma_f64 v[40:41], v[140:141], s[14:15], v[40:41]
	;; [unrolled: 1-line block ×3, first 2 shown]
	v_add_f64 v[94:95], v[48:49], v[110:111]
	v_add_f64 v[86:87], v[40:41], v[112:113]
	v_mul_f64 v[40:41], v[42:43], s[24:25]
	v_fma_f64 v[42:43], v[136:137], s[22:23], v[92:93]
	v_fma_f64 v[92:93], v[136:137], s[22:23], -v[92:93]
	v_add_f64 v[90:91], v[90:91], v[124:125]
	v_fma_f64 v[48:49], v[136:137], s[28:29], v[40:41]
	v_fma_f64 v[40:41], v[136:137], s[28:29], -v[40:41]
	v_add_f64 v[44:45], v[92:93], v[44:45]
	v_fma_f64 v[92:93], v[140:141], s[20:21], v[104:105]
	v_lshrrev_b32_e32 v104, 1, v130
	v_add_f64 v[42:43], v[42:43], v[122:123]
	v_mul_u32_u24_e32 v104, 26, v104
	v_or_b32_e32 v104, v104, v147
	v_lshl_add_u32 v104, v104, 3, 0
	ds_write2_b64 v104, v[8:9], v[30:31] offset1:2
	ds_write2_b64 v104, v[28:29], v[32:33] offset0:4 offset1:6
	ds_write2_b64 v104, v[24:25], v[26:27] offset0:8 offset1:10
	;; [unrolled: 1-line block ×5, first 2 shown]
	ds_write_b64 v104, v[4:5] offset:192
	v_add_f64 v[48:49], v[48:49], v[114:115]
	v_lshrrev_b32_e32 v4, 1, v144
	v_add_f64 v[40:41], v[40:41], v[116:117]
	v_add_f64 v[92:93], v[92:93], v[126:127]
	v_mul_u32_u24_e32 v4, 26, v4
	v_or_b32_e32 v4, v4, v147
	v_lshl_add_u32 v105, v4, 3, 0
	ds_write2_b64 v105, v[10:11], v[54:55] offset1:2
	ds_write2_b64 v105, v[50:51], v[52:53] offset0:4 offset1:6
	ds_write2_b64 v105, v[46:47], v[48:49] offset0:8 offset1:10
	;; [unrolled: 1-line block ×5, first 2 shown]
	ds_write_b64 v105, v[6:7] offset:192
	s_waitcnt lgkmcnt(0)
	s_barrier
	buffer_gl0_inv
	ds_read2_b64 v[4:7], v131 offset1:52
	ds_read2_b64 v[52:55], v131 offset0:104 offset1:156
	ds_read2_b64 v[48:51], v170 offset0:80 offset1:132
	ds_read2_b64 v[44:47], v171 offset0:56 offset1:108
	ds_read2_b64 v[40:43], v171 offset0:160 offset1:212
	ds_read2_b64 v[36:39], v172 offset0:8 offset1:60
	ds_read2_b64 v[32:35], v172 offset0:112 offset1:164
	ds_read2_b64 v[28:31], v145 offset0:88 offset1:140
	ds_read2_b64 v[24:27], v173 offset0:64 offset1:116
	ds_read2_b64 v[20:23], v173 offset0:168 offset1:220
	ds_read2_b64 v[16:19], v174 offset0:16 offset1:68
	ds_read2_b64 v[12:15], v174 offset0:120 offset1:172
	ds_read2_b64 v[8:11], v146 offset0:96 offset1:148
	s_waitcnt lgkmcnt(0)
	s_barrier
	buffer_gl0_inv
	ds_write2_b64 v104, v[56:57], v[80:81] offset1:2
	ds_write2_b64 v104, v[76:77], v[78:79] offset0:4 offset1:6
	ds_write2_b64 v104, v[72:73], v[74:75] offset0:8 offset1:10
	;; [unrolled: 1-line block ×5, first 2 shown]
	ds_write_b64 v104, v[0:1] offset:192
	ds_write2_b64 v105, v[58:59], v[102:103] offset1:2
	ds_write2_b64 v105, v[98:99], v[100:101] offset0:4 offset1:6
	ds_write2_b64 v105, v[94:95], v[96:97] offset0:8 offset1:10
	;; [unrolled: 1-line block ×5, first 2 shown]
	ds_write_b64 v105, v[2:3] offset:192
	v_mul_i32_i24_e32 v104, 12, v160
	v_mov_b32_e32 v105, 0
	s_waitcnt lgkmcnt(0)
	s_barrier
	buffer_gl0_inv
	ds_read2_b64 v[0:3], v131 offset1:52
	ds_read2_b64 v[100:103], v131 offset0:104 offset1:156
	ds_read2_b64 v[96:99], v170 offset0:80 offset1:132
	;; [unrolled: 1-line block ×12, first 2 shown]
	v_lshlrev_b64 v[104:105], 4, v[104:105]
	v_add_co_u32 v142, s1, s8, v104
	v_add_co_ci_u32_e64 v143, s1, s9, v105, s1
	s_clause 0x3
	global_load_dwordx4 v[110:113], v[142:143], off offset:432
	global_load_dwordx4 v[104:107], v[142:143], off offset:416
	;; [unrolled: 1-line block ×4, first 2 shown]
	v_cmp_lt_u32_e64 s1, 25, v130
	s_waitcnt vmcnt(0) lgkmcnt(11)
	v_mul_f64 v[108:109], v[100:101], v[126:127]
	v_fma_f64 v[116:117], v[52:53], v[124:125], v[108:109]
	v_mul_f64 v[52:53], v[52:53], v[126:127]
	v_fma_f64 v[140:141], v[100:101], v[124:125], -v[52:53]
	s_waitcnt lgkmcnt(10)
	v_mul_f64 v[52:53], v[96:97], v[122:123]
	v_fma_f64 v[118:119], v[48:49], v[120:121], v[52:53]
	v_mul_f64 v[48:49], v[48:49], v[122:123]
	v_fma_f64 v[108:109], v[96:97], v[120:121], -v[48:49]
	s_clause 0x3
	global_load_dwordx4 v[120:123], v[142:143], off offset:496
	global_load_dwordx4 v[134:137], v[142:143], off offset:480
	;; [unrolled: 1-line block ×4, first 2 shown]
	s_waitcnt lgkmcnt(9)
	v_mul_f64 v[48:49], v[92:93], v[106:107]
	v_fma_f64 v[124:125], v[44:45], v[104:105], v[48:49]
	v_mul_f64 v[44:45], v[44:45], v[106:107]
	v_fma_f64 v[106:107], v[92:93], v[104:105], -v[44:45]
	s_waitcnt lgkmcnt(8)
	v_mul_f64 v[44:45], v[88:89], v[112:113]
	v_fma_f64 v[114:115], v[40:41], v[110:111], v[44:45]
	v_mul_f64 v[40:41], v[40:41], v[112:113]
	v_fma_f64 v[104:105], v[88:89], v[110:111], -v[40:41]
	s_waitcnt vmcnt(0) lgkmcnt(7)
	v_mul_f64 v[40:41], v[84:85], v[151:152]
	v_fma_f64 v[110:111], v[36:37], v[149:150], v[40:41]
	v_mul_f64 v[36:37], v[36:37], v[151:152]
	v_fma_f64 v[100:101], v[84:85], v[149:150], -v[36:37]
	s_waitcnt lgkmcnt(6)
	v_mul_f64 v[36:37], v[80:81], v[147:148]
	v_fma_f64 v[84:85], v[32:33], v[145:146], v[36:37]
	v_mul_f64 v[32:33], v[32:33], v[147:148]
	v_fma_f64 v[80:81], v[80:81], v[145:146], -v[32:33]
	s_waitcnt lgkmcnt(5)
	;; [unrolled: 5-line block ×3, first 2 shown]
	v_mul_f64 v[28:29], v[72:73], v[122:123]
	v_fma_f64 v[112:113], v[24:25], v[120:121], v[28:29]
	v_mul_f64 v[24:25], v[24:25], v[122:123]
	v_fma_f64 v[72:73], v[72:73], v[120:121], -v[24:25]
	s_clause 0x3
	global_load_dwordx4 v[120:123], v[142:143], off offset:560
	global_load_dwordx4 v[145:148], v[142:143], off offset:544
	;; [unrolled: 1-line block ×4, first 2 shown]
	s_waitcnt vmcnt(0) lgkmcnt(3)
	v_mul_f64 v[24:25], v[68:69], v[151:152]
	v_fma_f64 v[126:127], v[20:21], v[149:150], v[24:25]
	v_mul_f64 v[20:21], v[20:21], v[151:152]
	v_fma_f64 v[68:69], v[68:69], v[149:150], -v[20:21]
	s_waitcnt lgkmcnt(2)
	v_mul_f64 v[20:21], v[64:65], v[138:139]
	v_fma_f64 v[134:135], v[16:17], v[136:137], v[20:21]
	v_mul_f64 v[16:17], v[16:17], v[138:139]
	v_fma_f64 v[64:65], v[64:65], v[136:137], -v[16:17]
	s_waitcnt lgkmcnt(1)
	;; [unrolled: 5-line block ×3, first 2 shown]
	v_mul_f64 v[12:13], v[56:57], v[122:123]
	v_fma_f64 v[138:139], v[8:9], v[120:121], v[12:13]
	v_mul_f64 v[8:9], v[8:9], v[122:123]
	v_fma_f64 v[60:61], v[56:57], v[120:121], -v[8:9]
	v_and_b32_e32 v8, 0xff, v144
	v_mul_lo_u16 v8, 0x4f, v8
	v_lshrrev_b16 v158, 11, v8
	v_mul_lo_u16 v8, v158, 26
	v_sub_nc_u16 v159, v144, v8
	v_mov_b32_e32 v8, 12
	v_mul_u32_u24_sdwa v8, v159, v8 dst_sel:DWORD dst_unused:UNUSED_PAD src0_sel:BYTE_0 src1_sel:DWORD
	v_lshlrev_b32_e32 v12, 4, v8
	s_clause 0x3
	global_load_dwordx4 v[120:123], v12, s[8:9] offset:432
	global_load_dwordx4 v[154:157], v12, s[8:9] offset:416
	;; [unrolled: 1-line block ×4, first 2 shown]
	s_waitcnt vmcnt(0)
	v_mul_f64 v[8:9], v[102:103], v[150:151]
	v_fma_f64 v[152:153], v[54:55], v[148:149], v[8:9]
	v_mul_f64 v[8:9], v[54:55], v[150:151]
	v_fma_f64 v[142:143], v[102:103], v[148:149], -v[8:9]
	v_mul_f64 v[8:9], v[98:99], v[146:147]
	v_fma_f64 v[150:151], v[50:51], v[144:145], v[8:9]
	v_mul_f64 v[8:9], v[50:51], v[146:147]
	v_fma_f64 v[146:147], v[98:99], v[144:145], -v[8:9]
	;; [unrolled: 4-line block ×4, first 2 shown]
	s_clause 0x3
	global_load_dwordx4 v[40:43], v12, s[8:9] offset:496
	global_load_dwordx4 v[44:47], v12, s[8:9] offset:480
	;; [unrolled: 1-line block ×4, first 2 shown]
	s_waitcnt vmcnt(0)
	v_mul_f64 v[8:9], v[86:87], v[122:123]
	v_fma_f64 v[90:91], v[38:39], v[120:121], v[8:9]
	v_mul_f64 v[8:9], v[38:39], v[122:123]
	v_fma_f64 v[94:95], v[86:87], v[120:121], -v[8:9]
	v_mul_f64 v[8:9], v[82:83], v[50:51]
	v_fma_f64 v[52:53], v[34:35], v[48:49], v[8:9]
	v_mul_f64 v[8:9], v[34:35], v[50:51]
	v_fma_f64 v[82:83], v[82:83], v[48:49], -v[8:9]
	;; [unrolled: 4-line block ×3, first 2 shown]
	v_mul_f64 v[8:9], v[74:75], v[42:43]
	v_add_f64 v[186:187], v[82:83], -v[78:79]
	v_fma_f64 v[98:99], v[26:27], v[40:41], v[8:9]
	v_mul_f64 v[8:9], v[26:27], v[42:43]
	s_clause 0x3
	global_load_dwordx4 v[24:27], v12, s[8:9] offset:560
	global_load_dwordx4 v[28:31], v12, s[8:9] offset:544
	;; [unrolled: 1-line block ×4, first 2 shown]
	v_fma_f64 v[74:75], v[74:75], v[40:41], -v[8:9]
	s_waitcnt vmcnt(0)
	v_mul_f64 v[8:9], v[70:71], v[38:39]
	v_fma_f64 v[102:103], v[22:23], v[36:37], v[8:9]
	v_mul_f64 v[8:9], v[22:23], v[38:39]
	v_fma_f64 v[70:71], v[70:71], v[36:37], -v[8:9]
	v_mul_f64 v[8:9], v[66:67], v[34:35]
	v_fma_f64 v[144:145], v[18:19], v[32:33], v[8:9]
	v_mul_f64 v[8:9], v[18:19], v[34:35]
	v_fma_f64 v[66:67], v[66:67], v[32:33], -v[8:9]
	;; [unrolled: 4-line block ×3, first 2 shown]
	v_mul_f64 v[8:9], v[58:59], v[26:27]
	v_fma_f64 v[156:157], v[10:11], v[24:25], v[8:9]
	v_mul_f64 v[8:9], v[10:11], v[26:27]
	v_add_f64 v[10:11], v[140:141], -v[60:61]
	v_fma_f64 v[58:59], v[58:59], v[24:25], -v[8:9]
	v_add_f64 v[8:9], v[4:5], v[116:117]
	v_mul_f64 v[12:13], v[10:11], s[4:5]
	v_mul_f64 v[16:17], v[10:11], s[12:13]
	;; [unrolled: 1-line block ×6, first 2 shown]
	v_add_f64 v[8:9], v[8:9], v[118:119]
	v_add_f64 v[8:9], v[8:9], v[124:125]
	v_add_f64 v[8:9], v[8:9], v[114:115]
	v_add_f64 v[8:9], v[8:9], v[110:111]
	v_add_f64 v[8:9], v[8:9], v[84:85]
	v_add_f64 v[8:9], v[8:9], v[88:89]
	v_add_f64 v[8:9], v[8:9], v[112:113]
	v_add_f64 v[8:9], v[8:9], v[126:127]
	v_add_f64 v[8:9], v[8:9], v[134:135]
	v_add_f64 v[8:9], v[8:9], v[136:137]
	v_add_f64 v[22:23], v[8:9], v[138:139]
	v_add_f64 v[8:9], v[116:117], v[138:139]
	v_fma_f64 v[14:15], v[8:9], s[10:11], v[12:13]
	v_fma_f64 v[12:13], v[8:9], s[10:11], -v[12:13]
	v_fma_f64 v[18:19], v[8:9], s[16:17], v[16:17]
	v_fma_f64 v[16:17], v[8:9], s[16:17], -v[16:17]
	;; [unrolled: 2-line block ×6, first 2 shown]
	v_add_f64 v[10:11], v[108:109], -v[128:129]
	v_add_f64 v[14:15], v[4:5], v[14:15]
	v_add_f64 v[12:13], v[4:5], v[12:13]
	;; [unrolled: 1-line block ×13, first 2 shown]
	v_mul_f64 v[36:37], v[10:11], s[12:13]
	v_fma_f64 v[38:39], v[8:9], s[16:17], v[36:37]
	v_fma_f64 v[36:37], v[8:9], s[16:17], -v[36:37]
	v_add_f64 v[14:15], v[38:39], v[14:15]
	v_add_f64 v[12:13], v[36:37], v[12:13]
	v_mul_f64 v[36:37], v[10:11], s[24:25]
	v_fma_f64 v[38:39], v[8:9], s[28:29], v[36:37]
	v_fma_f64 v[36:37], v[8:9], s[28:29], -v[36:37]
	v_add_f64 v[18:19], v[38:39], v[18:19]
	v_add_f64 v[16:17], v[36:37], v[16:17]
	v_mul_f64 v[36:37], v[10:11], s[38:39]
	v_fma_f64 v[38:39], v[8:9], s[40:41], v[36:37]
	v_fma_f64 v[36:37], v[8:9], s[40:41], -v[36:37]
	v_add_f64 v[24:25], v[38:39], v[24:25]
	v_add_f64 v[20:21], v[36:37], v[20:21]
	v_mul_f64 v[36:37], v[10:11], s[34:35]
	v_fma_f64 v[38:39], v[8:9], s[36:37], v[36:37]
	v_fma_f64 v[36:37], v[8:9], s[36:37], -v[36:37]
	v_add_f64 v[28:29], v[38:39], v[28:29]
	v_add_f64 v[26:27], v[36:37], v[26:27]
	v_mul_f64 v[36:37], v[10:11], s[20:21]
	v_mul_f64 v[10:11], v[10:11], s[6:7]
	v_fma_f64 v[38:39], v[8:9], s[22:23], v[36:37]
	v_fma_f64 v[36:37], v[8:9], s[22:23], -v[36:37]
	v_add_f64 v[32:33], v[38:39], v[32:33]
	v_add_f64 v[30:31], v[36:37], v[30:31]
	v_fma_f64 v[36:37], v[8:9], s[10:11], v[10:11]
	v_fma_f64 v[8:9], v[8:9], s[10:11], -v[10:11]
	v_add_f64 v[10:11], v[106:107], -v[64:65]
	v_add_f64 v[34:35], v[36:37], v[34:35]
	v_add_f64 v[4:5], v[8:9], v[4:5]
	v_add_f64 v[8:9], v[124:125], v[134:135]
	v_mul_f64 v[36:37], v[10:11], s[18:19]
	v_fma_f64 v[38:39], v[8:9], s[22:23], v[36:37]
	v_fma_f64 v[36:37], v[8:9], s[22:23], -v[36:37]
	v_add_f64 v[14:15], v[38:39], v[14:15]
	v_add_f64 v[12:13], v[36:37], v[12:13]
	v_mul_f64 v[36:37], v[10:11], s[38:39]
	v_fma_f64 v[38:39], v[8:9], s[40:41], v[36:37]
	v_fma_f64 v[36:37], v[8:9], s[40:41], -v[36:37]
	v_add_f64 v[18:19], v[38:39], v[18:19]
	v_add_f64 v[16:17], v[36:37], v[16:17]
	v_mul_f64 v[36:37], v[10:11], s[26:27]
	v_fma_f64 v[38:39], v[8:9], s[28:29], v[36:37]
	v_fma_f64 v[36:37], v[8:9], s[28:29], -v[36:37]
	v_add_f64 v[24:25], v[38:39], v[24:25]
	v_add_f64 v[20:21], v[36:37], v[20:21]
	v_mul_f64 v[36:37], v[10:11], s[6:7]
	v_fma_f64 v[38:39], v[8:9], s[10:11], v[36:37]
	v_fma_f64 v[36:37], v[8:9], s[10:11], -v[36:37]
	v_add_f64 v[28:29], v[38:39], v[28:29]
	v_add_f64 v[26:27], v[36:37], v[26:27]
	v_mul_f64 v[36:37], v[10:11], s[12:13]
	v_mul_f64 v[10:11], v[10:11], s[30:31]
	v_fma_f64 v[38:39], v[8:9], s[16:17], v[36:37]
	v_fma_f64 v[36:37], v[8:9], s[16:17], -v[36:37]
	v_add_f64 v[32:33], v[38:39], v[32:33]
	v_add_f64 v[30:31], v[36:37], v[30:31]
	v_fma_f64 v[36:37], v[8:9], s[36:37], v[10:11]
	v_fma_f64 v[8:9], v[8:9], s[36:37], -v[10:11]
	v_add_f64 v[10:11], v[104:105], -v[68:69]
	v_add_f64 v[34:35], v[36:37], v[34:35]
	v_add_f64 v[4:5], v[8:9], v[4:5]
	v_add_f64 v[8:9], v[114:115], v[126:127]
	;; [unrolled: 32-line block ×3, first 2 shown]
	v_mul_f64 v[36:37], v[10:11], s[30:31]
	v_fma_f64 v[38:39], v[8:9], s[36:37], v[36:37]
	v_fma_f64 v[36:37], v[8:9], s[36:37], -v[36:37]
	v_add_f64 v[14:15], v[38:39], v[14:15]
	v_add_f64 v[12:13], v[36:37], v[12:13]
	v_mul_f64 v[36:37], v[10:11], s[20:21]
	v_fma_f64 v[38:39], v[8:9], s[22:23], v[36:37]
	v_add_f64 v[38:39], v[38:39], v[18:19]
	v_fma_f64 v[18:19], v[8:9], s[22:23], -v[36:37]
	v_add_f64 v[16:17], v[18:19], v[16:17]
	v_mul_f64 v[18:19], v[10:11], s[12:13]
	v_fma_f64 v[36:37], v[8:9], s[16:17], v[18:19]
	v_fma_f64 v[18:19], v[8:9], s[16:17], -v[18:19]
	v_add_f64 v[24:25], v[36:37], v[24:25]
	v_add_f64 v[20:21], v[18:19], v[20:21]
	v_mul_f64 v[18:19], v[10:11], s[42:43]
	v_fma_f64 v[36:37], v[8:9], s[40:41], v[18:19]
	v_fma_f64 v[18:19], v[8:9], s[40:41], -v[18:19]
	v_add_f64 v[28:29], v[36:37], v[28:29]
	v_add_f64 v[26:27], v[18:19], v[26:27]
	v_mul_f64 v[18:19], v[10:11], s[6:7]
	v_mul_f64 v[10:11], v[10:11], s[24:25]
	v_fma_f64 v[36:37], v[8:9], s[10:11], v[18:19]
	v_fma_f64 v[18:19], v[8:9], s[10:11], -v[18:19]
	v_add_f64 v[36:37], v[36:37], v[32:33]
	v_add_f64 v[40:41], v[18:19], v[30:31]
	v_fma_f64 v[18:19], v[8:9], s[28:29], v[10:11]
	v_fma_f64 v[8:9], v[8:9], s[28:29], -v[10:11]
	v_add_f64 v[10:11], v[80:81], -v[76:77]
	v_add_f64 v[120:121], v[18:19], v[34:35]
	v_add_f64 v[4:5], v[8:9], v[4:5]
	;; [unrolled: 1-line block ×3, first 2 shown]
	v_mul_f64 v[18:19], v[10:11], s[38:39]
	v_fma_f64 v[30:31], v[8:9], s[40:41], v[18:19]
	v_add_f64 v[50:51], v[30:31], v[14:15]
	v_fma_f64 v[14:15], v[8:9], s[40:41], -v[18:19]
	v_add_f64 v[18:19], v[14:15], v[12:13]
	v_mul_f64 v[12:13], v[10:11], s[6:7]
	v_fma_f64 v[14:15], v[8:9], s[10:11], v[12:13]
	v_fma_f64 v[12:13], v[8:9], s[10:11], -v[12:13]
	v_add_f64 v[46:47], v[14:15], v[38:39]
	v_add_f64 v[30:31], v[12:13], v[16:17]
	v_mul_f64 v[12:13], v[10:11], s[30:31]
	v_fma_f64 v[14:15], v[8:9], s[36:37], v[12:13]
	v_fma_f64 v[12:13], v[8:9], s[36:37], -v[12:13]
	v_add_f64 v[48:49], v[14:15], v[24:25]
	v_add_f64 v[32:33], v[12:13], v[20:21]
	v_mul_f64 v[12:13], v[10:11], s[14:15]
	v_fma_f64 v[14:15], v[8:9], s[16:17], v[12:13]
	v_fma_f64 v[12:13], v[8:9], s[16:17], -v[12:13]
	v_add_f64 v[42:43], v[14:15], v[28:29]
	v_add_f64 v[34:35], v[12:13], v[26:27]
	v_mul_f64 v[12:13], v[10:11], s[24:25]
	v_mul_f64 v[10:11], v[10:11], s[20:21]
	v_fma_f64 v[14:15], v[8:9], s[28:29], v[12:13]
	v_fma_f64 v[12:13], v[8:9], s[28:29], -v[12:13]
	v_add_f64 v[44:45], v[14:15], v[36:37]
	v_add_f64 v[36:37], v[12:13], v[40:41]
	v_fma_f64 v[12:13], v[8:9], s[22:23], v[10:11]
	v_fma_f64 v[8:9], v[8:9], s[22:23], -v[10:11]
	v_add_f64 v[38:39], v[12:13], v[120:121]
	v_add_f64 v[40:41], v[8:9], v[4:5]
	;; [unrolled: 1-line block ×3, first 2 shown]
	v_add_f64 v[8:9], v[142:143], -v[58:59]
	v_add_f64 v[4:5], v[4:5], v[150:151]
	v_mul_f64 v[10:11], v[8:9], s[4:5]
	v_mul_f64 v[14:15], v[8:9], s[12:13]
	;; [unrolled: 1-line block ×6, first 2 shown]
	v_add_f64 v[4:5], v[4:5], v[96:97]
	v_add_f64 v[4:5], v[4:5], v[56:57]
	;; [unrolled: 1-line block ×4, first 2 shown]
	buffer_store_dword v52, off, s[44:47], 0 offset:16 ; 4-byte Folded Spill
	buffer_store_dword v53, off, s[44:47], 0 offset:20 ; 4-byte Folded Spill
	s_waitcnt_vscnt null, 0x0
	s_barrier
	buffer_gl0_inv
	v_add_f64 v[4:5], v[4:5], v[86:87]
	v_add_f64 v[4:5], v[4:5], v[98:99]
	;; [unrolled: 1-line block ×7, first 2 shown]
	v_fma_f64 v[12:13], v[4:5], s[10:11], v[10:11]
	v_fma_f64 v[10:11], v[4:5], s[10:11], -v[10:11]
	v_fma_f64 v[20:21], v[4:5], s[16:17], v[14:15]
	v_fma_f64 v[14:15], v[4:5], s[16:17], -v[14:15]
	;; [unrolled: 2-line block ×6, first 2 shown]
	v_add_f64 v[8:9], v[146:147], -v[62:63]
	v_add_f64 v[12:13], v[6:7], v[12:13]
	v_add_f64 v[10:11], v[6:7], v[10:11]
	v_add_f64 v[20:21], v[6:7], v[20:21]
	v_add_f64 v[14:15], v[6:7], v[14:15]
	v_add_f64 v[26:27], v[6:7], v[26:27]
	v_add_f64 v[24:25], v[6:7], v[24:25]
	v_add_f64 v[120:121], v[6:7], v[120:121]
	v_add_f64 v[28:29], v[6:7], v[28:29]
	v_add_f64 v[161:162], v[6:7], v[161:162]
	v_add_f64 v[122:123], v[6:7], v[122:123]
	v_add_f64 v[163:164], v[6:7], v[163:164]
	v_add_f64 v[4:5], v[6:7], v[4:5]
	v_add_f64 v[6:7], v[150:151], v[154:155]
	v_mul_f64 v[165:166], v[8:9], s[12:13]
	v_fma_f64 v[176:177], v[6:7], s[16:17], v[165:166]
	v_fma_f64 v[165:166], v[6:7], s[16:17], -v[165:166]
	v_add_f64 v[12:13], v[176:177], v[12:13]
	v_add_f64 v[10:11], v[165:166], v[10:11]
	v_mul_f64 v[165:166], v[8:9], s[24:25]
	v_fma_f64 v[176:177], v[6:7], s[28:29], v[165:166]
	v_fma_f64 v[165:166], v[6:7], s[28:29], -v[165:166]
	v_add_f64 v[20:21], v[176:177], v[20:21]
	v_add_f64 v[14:15], v[165:166], v[14:15]
	v_mul_f64 v[165:166], v[8:9], s[38:39]
	v_fma_f64 v[176:177], v[6:7], s[40:41], v[165:166]
	v_fma_f64 v[165:166], v[6:7], s[40:41], -v[165:166]
	v_add_f64 v[184:185], v[52:53], v[86:87]
	v_lshlrev_b32_e32 v52, 3, v160
	v_add_f64 v[26:27], v[176:177], v[26:27]
	v_add_f64 v[24:25], v[165:166], v[24:25]
	v_mul_f64 v[165:166], v[8:9], s[34:35]
	v_fma_f64 v[176:177], v[6:7], s[36:37], v[165:166]
	v_fma_f64 v[165:166], v[6:7], s[36:37], -v[165:166]
	v_add_f64 v[120:121], v[176:177], v[120:121]
	v_add_f64 v[28:29], v[165:166], v[28:29]
	v_mul_f64 v[165:166], v[8:9], s[20:21]
	v_mul_f64 v[8:9], v[8:9], s[6:7]
	v_fma_f64 v[176:177], v[6:7], s[22:23], v[165:166]
	v_fma_f64 v[165:166], v[6:7], s[22:23], -v[165:166]
	v_add_f64 v[161:162], v[176:177], v[161:162]
	v_add_f64 v[122:123], v[165:166], v[122:123]
	v_fma_f64 v[165:166], v[6:7], s[10:11], v[8:9]
	v_fma_f64 v[6:7], v[6:7], s[10:11], -v[8:9]
	v_add_f64 v[8:9], v[148:149], -v[66:67]
	v_add_f64 v[163:164], v[165:166], v[163:164]
	v_add_f64 v[4:5], v[6:7], v[4:5]
	v_add_f64 v[6:7], v[96:97], v[144:145]
	v_mul_f64 v[165:166], v[8:9], s[18:19]
	v_fma_f64 v[176:177], v[6:7], s[22:23], v[165:166]
	v_fma_f64 v[165:166], v[6:7], s[22:23], -v[165:166]
	v_add_f64 v[12:13], v[176:177], v[12:13]
	v_add_f64 v[10:11], v[165:166], v[10:11]
	v_mul_f64 v[165:166], v[8:9], s[38:39]
	v_fma_f64 v[176:177], v[6:7], s[40:41], v[165:166]
	v_fma_f64 v[165:166], v[6:7], s[40:41], -v[165:166]
	v_add_f64 v[20:21], v[176:177], v[20:21]
	v_add_f64 v[14:15], v[165:166], v[14:15]
	v_mul_f64 v[165:166], v[8:9], s[26:27]
	v_fma_f64 v[176:177], v[6:7], s[28:29], v[165:166]
	v_fma_f64 v[165:166], v[6:7], s[28:29], -v[165:166]
	v_add_f64 v[26:27], v[176:177], v[26:27]
	v_add_f64 v[24:25], v[165:166], v[24:25]
	v_mul_f64 v[165:166], v[8:9], s[6:7]
	v_fma_f64 v[176:177], v[6:7], s[10:11], v[165:166]
	v_fma_f64 v[165:166], v[6:7], s[10:11], -v[165:166]
	v_add_f64 v[120:121], v[176:177], v[120:121]
	v_add_f64 v[28:29], v[165:166], v[28:29]
	v_mul_f64 v[165:166], v[8:9], s[12:13]
	v_mul_f64 v[8:9], v[8:9], s[30:31]
	v_fma_f64 v[176:177], v[6:7], s[16:17], v[165:166]
	v_fma_f64 v[165:166], v[6:7], s[16:17], -v[165:166]
	v_add_f64 v[161:162], v[176:177], v[161:162]
	v_add_f64 v[122:123], v[165:166], v[122:123]
	v_fma_f64 v[165:166], v[6:7], s[36:37], v[8:9]
	v_fma_f64 v[6:7], v[6:7], s[36:37], -v[8:9]
	v_add_f64 v[8:9], v[92:93], -v[70:71]
	v_add_f64 v[163:164], v[165:166], v[163:164]
	v_add_f64 v[4:5], v[6:7], v[4:5]
	v_add_f64 v[6:7], v[56:57], v[102:103]
	v_mul_f64 v[165:166], v[8:9], s[24:25]
	v_fma_f64 v[176:177], v[6:7], s[28:29], v[165:166]
	v_fma_f64 v[165:166], v[6:7], s[28:29], -v[165:166]
	v_add_f64 v[12:13], v[176:177], v[12:13]
	v_add_f64 v[10:11], v[165:166], v[10:11]
	v_mul_f64 v[165:166], v[8:9], s[34:35]
	v_fma_f64 v[176:177], v[6:7], s[36:37], v[165:166]
	v_fma_f64 v[165:166], v[6:7], s[36:37], -v[165:166]
	v_add_f64 v[20:21], v[176:177], v[20:21]
	v_add_f64 v[14:15], v[165:166], v[14:15]
	v_mul_f64 v[165:166], v[8:9], s[6:7]
	v_fma_f64 v[176:177], v[6:7], s[10:11], v[165:166]
	v_fma_f64 v[165:166], v[6:7], s[10:11], -v[165:166]
	;; [unrolled: 32-line block ×3, first 2 shown]
	v_add_f64 v[26:27], v[176:177], v[26:27]
	v_add_f64 v[165:166], v[165:166], v[24:25]
	v_mul_f64 v[24:25], v[8:9], s[42:43]
	v_fma_f64 v[176:177], v[6:7], s[40:41], v[24:25]
	v_fma_f64 v[24:25], v[6:7], s[40:41], -v[24:25]
	v_add_f64 v[176:177], v[176:177], v[120:121]
	v_add_f64 v[178:179], v[24:25], v[28:29]
	v_mul_f64 v[24:25], v[8:9], s[6:7]
	v_mul_f64 v[8:9], v[8:9], s[24:25]
	v_fma_f64 v[28:29], v[6:7], s[10:11], v[24:25]
	v_fma_f64 v[24:25], v[6:7], s[10:11], -v[24:25]
	v_add_f64 v[161:162], v[28:29], v[161:162]
	v_add_f64 v[180:181], v[24:25], v[122:123]
	v_fma_f64 v[24:25], v[6:7], s[28:29], v[8:9]
	v_fma_f64 v[6:7], v[6:7], s[28:29], -v[8:9]
	v_add_f64 v[163:164], v[24:25], v[163:164]
	v_add_f64 v[182:183], v[6:7], v[4:5]
	v_mul_f64 v[4:5], v[186:187], s[38:39]
	v_fma_f64 v[6:7], v[184:185], s[40:41], v[4:5]
	v_fma_f64 v[4:5], v[184:185], s[40:41], -v[4:5]
	v_add_f64 v[28:29], v[6:7], v[12:13]
	v_add_f64 v[122:123], v[4:5], v[10:11]
	v_mul_f64 v[4:5], v[186:187], s[6:7]
	v_mul_f64 v[12:13], v[186:187], s[20:21]
	v_fma_f64 v[6:7], v[184:185], s[10:11], v[4:5]
	v_fma_f64 v[4:5], v[184:185], s[10:11], -v[4:5]
	v_add_f64 v[24:25], v[6:7], v[20:21]
	v_add_f64 v[120:121], v[4:5], v[14:15]
	v_mul_f64 v[4:5], v[186:187], s[30:31]
	v_fma_f64 v[6:7], v[184:185], s[36:37], v[4:5]
	v_fma_f64 v[4:5], v[184:185], s[36:37], -v[4:5]
	v_add_f64 v[26:27], v[6:7], v[26:27]
	v_mul_f64 v[6:7], v[186:187], s[14:15]
	v_add_f64 v[4:5], v[4:5], v[165:166]
	v_fma_f64 v[8:9], v[184:185], s[16:17], v[6:7]
	v_fma_f64 v[6:7], v[184:185], s[16:17], -v[6:7]
	v_add_f64 v[14:15], v[8:9], v[176:177]
	v_mul_f64 v[8:9], v[186:187], s[24:25]
	v_add_f64 v[6:7], v[6:7], v[178:179]
	v_fma_f64 v[10:11], v[184:185], s[28:29], v[8:9]
	v_fma_f64 v[8:9], v[184:185], s[28:29], -v[8:9]
	v_add_f64 v[20:21], v[10:11], v[161:162]
	v_fma_f64 v[10:11], v[184:185], s[22:23], v[12:13]
	v_fma_f64 v[12:13], v[184:185], s[22:23], -v[12:13]
	v_cndmask_b32_e64 v161, 0, 0xa90, s1
	v_add_f64 v[8:9], v[8:9], v[180:181]
	v_add_nc_u32_e32 v180, 0x1c00, v131
	v_add3_u32 v176, 0, v161, v52
	ds_write2_b64 v176, v[22:23], v[50:51] offset1:26
	ds_write2_b64 v176, v[46:47], v[48:49] offset0:52 offset1:78
	ds_write2_b64 v176, v[42:43], v[44:45] offset0:104 offset1:130
	;; [unrolled: 1-line block ×4, first 2 shown]
	v_add_nc_u32_e32 v177, 0x800, v176
	ds_write2_b64 v177, v[32:33], v[30:31] offset0:4 offset1:30
	ds_write_b64 v176, v[18:19] offset:2496
	v_mov_b32_e32 v18, 0xa90
	v_mov_b32_e32 v19, 3
                                        ; implicit-def: $vgpr52_vgpr53
                                        ; kill: killed $vgpr52_vgpr53
                                        ; implicit-def: $vgpr52_vgpr53
	v_add_f64 v[10:11], v[10:11], v[163:164]
	v_add_f64 v[12:13], v[12:13], v[182:183]
	v_mul_u32_u24_sdwa v18, v158, v18 dst_sel:DWORD dst_unused:UNUSED_PAD src0_sel:WORD_0 src1_sel:DWORD
	v_lshlrev_b32_sdwa v19, v19, v159 dst_sel:DWORD dst_unused:UNUSED_PAD src0_sel:DWORD src1_sel:BYTE_0
                                        ; kill: killed $vgpr52_vgpr53
	v_add3_u32 v178, 0, v18, v19
	ds_write2_b64 v178, v[16:17], v[28:29] offset1:26
	ds_write2_b64 v178, v[24:25], v[26:27] offset0:52 offset1:78
	ds_write2_b64 v178, v[14:15], v[20:21] offset0:104 offset1:130
	;; [unrolled: 1-line block ×4, first 2 shown]
	v_add_nc_u32_e32 v179, 0x800, v178
	ds_write2_b64 v179, v[4:5], v[120:121] offset0:4 offset1:30
	ds_write_b64 v178, v[122:123] offset:2496
	s_waitcnt lgkmcnt(0)
	s_barrier
	buffer_gl0_inv
	ds_read2_b64 v[4:7], v131 offset1:52
	ds_read2_b64 v[20:23], v171 offset0:82 offset1:134
	ds_read2_b64 v[16:19], v172 offset0:164 offset1:216
	;; [unrolled: 1-line block ×11, first 2 shown]
	s_and_saveexec_b32 s1, s0
	s_cbranch_execz .LBB0_13
; %bb.12:
	ds_read_b64 v[120:121], v131 offset:2496
	ds_read_b64 v[122:123], v131 offset:5200
	;; [unrolled: 1-line block ×3, first 2 shown]
	s_waitcnt lgkmcnt(0)
	buffer_store_dword v52, off, s[44:47], 0 offset:28 ; 4-byte Folded Spill
	buffer_store_dword v53, off, s[44:47], 0 offset:32 ; 4-byte Folded Spill
	ds_read_b64 v[52:53], v131 offset:10608
	s_waitcnt lgkmcnt(0)
	buffer_store_dword v52, off, s[44:47], 0 offset:36 ; 4-byte Folded Spill
	buffer_store_dword v53, off, s[44:47], 0 offset:40 ; 4-byte Folded Spill
.LBB0_13:
	s_or_b32 exec_lo, exec_lo, s1
	v_add_f64 v[162:163], v[0:1], v[140:141]
	v_add_f64 v[140:141], v[140:141], v[60:61]
	;; [unrolled: 1-line block ×4, first 2 shown]
	v_add_f64 v[116:117], v[116:117], -v[138:139]
	v_add_f64 v[118:119], v[118:119], -v[136:137]
	;; [unrolled: 1-line block ×4, first 2 shown]
	v_add_f64 v[134:135], v[104:105], v[68:69]
	v_add_f64 v[126:127], v[114:115], -v[126:127]
	v_add_f64 v[114:115], v[100:101], v[72:73]
	v_mov_b32_e32 v54, v128
	v_mov_b32_e32 v55, v129
	;; [unrolled: 1-line block ×4, first 2 shown]
	v_add_f64 v[84:85], v[84:85], -v[88:89]
	v_add_f64 v[88:89], v[142:143], v[58:59]
	v_add_f64 v[142:143], v[2:3], v[142:143]
	v_add_f64 v[96:97], v[96:97], -v[144:145]
	v_add_f64 v[56:57], v[56:57], -v[102:103]
	;; [unrolled: 1-line block ×3, first 2 shown]
	v_add_f64 v[108:109], v[162:163], v[108:109]
	v_mul_f64 v[110:111], v[140:141], s[10:11]
	v_mul_f64 v[112:113], v[140:141], s[16:17]
	;; [unrolled: 1-line block ×21, first 2 shown]
	v_add_f64 v[106:107], v[108:109], v[106:107]
	v_fma_f64 v[108:109], v[116:117], s[6:7], v[110:111]
	v_fma_f64 v[110:111], v[116:117], s[4:5], v[110:111]
	;; [unrolled: 1-line block ×8, first 2 shown]
	v_mul_f64 v[209:210], v[134:135], s[22:23]
	v_mul_f64 v[211:212], v[134:135], s[40:41]
	;; [unrolled: 1-line block ×5, first 2 shown]
	v_fma_f64 v[223:224], v[116:117], s[34:35], v[162:163]
	v_fma_f64 v[162:163], v[116:117], s[30:31], v[162:163]
	;; [unrolled: 1-line block ×8, first 2 shown]
	v_add_f64 v[104:105], v[106:107], v[104:105]
	v_fma_f64 v[229:230], v[118:119], s[42:43], v[187:188]
	v_fma_f64 v[187:188], v[118:119], s[38:39], v[187:188]
	;; [unrolled: 1-line block ×8, first 2 shown]
	v_add_f64 v[106:107], v[0:1], v[108:109]
	v_add_f64 v[108:109], v[0:1], v[110:111]
	;; [unrolled: 1-line block ×7, first 2 shown]
	v_mul_f64 v[251:252], v[114:115], s[16:17]
	v_mul_f64 v[132:133], v[114:115], s[40:41]
	;; [unrolled: 1-line block ×4, first 2 shown]
	v_fma_f64 v[239:240], v[124:125], s[20:21], v[193:194]
	v_fma_f64 v[193:194], v[124:125], s[18:19], v[193:194]
	v_add_f64 v[253:254], v[104:105], v[100:101]
	v_fma_f64 v[241:242], v[124:125], s[42:43], v[195:196]
	v_fma_f64 v[195:196], v[124:125], s[38:39], v[195:196]
	v_fma_f64 v[243:244], v[124:125], s[24:25], v[197:198]
	v_fma_f64 v[197:198], v[124:125], s[26:27], v[197:198]
	v_fma_f64 v[245:246], v[124:125], s[4:5], v[199:200]
	v_fma_f64 v[199:200], v[124:125], s[6:7], v[199:200]
	v_fma_f64 v[217:218], v[124:125], s[14:15], v[201:202]
	v_fma_f64 v[201:202], v[124:125], s[12:13], v[201:202]
	v_add_f64 v[219:220], v[0:1], v[221:222]
	v_add_f64 v[221:222], v[0:1], v[223:224]
	;; [unrolled: 1-line block ×3, first 2 shown]
	v_fma_f64 v[247:248], v[124:125], s[34:35], v[166:167]
	v_fma_f64 v[249:250], v[124:125], s[30:31], v[166:167]
	v_add_f64 v[168:169], v[116:117], v[106:107]
	v_add_f64 v[60:61], v[140:141], v[108:109]
	v_fma_f64 v[158:159], v[126:127], s[26:27], v[203:204]
	v_fma_f64 v[203:204], v[126:127], s[24:25], v[203:204]
	v_add_f64 v[183:184], v[183:184], v[110:111]
	v_fma_f64 v[166:167], v[126:127], s[30:31], v[205:206]
	v_fma_f64 v[164:165], v[126:127], s[34:35], v[205:206]
	v_add_f64 v[185:186], v[185:186], v[112:113]
	v_fma_f64 v[162:163], v[126:127], s[4:5], v[207:208]
	v_add_f64 v[205:206], v[229:230], v[118:119]
	v_add_f64 v[187:188], v[187:188], v[136:137]
	;; [unrolled: 1-line block ×3, first 2 shown]
	v_fma_f64 v[140:141], v[126:127], s[6:7], v[207:208]
	v_fma_f64 v[138:139], v[126:127], s[20:21], v[209:210]
	;; [unrolled: 1-line block ×15, first 2 shown]
	v_add_f64 v[132:133], v[152:153], -v[156:157]
	v_fma_f64 v[152:153], v[181:182], s[4:5], v[128:129]
	v_fma_f64 v[128:129], v[181:182], s[6:7], v[128:129]
	;; [unrolled: 1-line block ×4, first 2 shown]
	v_add_f64 v[181:182], v[253:254], v[80:81]
	v_add_f64 v[207:208], v[0:1], v[225:226]
	;; [unrolled: 1-line block ×5, first 2 shown]
	v_mul_f64 v[80:81], v[88:89], s[10:11]
	v_mul_f64 v[211:212], v[88:89], s[22:23]
	;; [unrolled: 1-line block ×3, first 2 shown]
	v_add_f64 v[60:61], v[193:194], v[60:61]
	v_mul_f64 v[193:194], v[88:89], s[36:37]
	v_add_f64 v[191:192], v[191:192], v[223:224]
	v_add_f64 v[146:147], v[146:147], v[62:63]
	v_add_f64 v[219:220], v[231:232], v[219:220]
	v_add_f64 v[221:222], v[233:234], v[221:222]
	v_add_f64 v[168:169], v[239:240], v[168:169]
	v_add_f64 v[189:190], v[199:200], v[189:190]
	v_add_f64 v[76:77], v[181:182], v[76:77]
	v_add_f64 v[181:182], v[235:236], v[207:208]
	v_mul_f64 v[207:208], v[88:89], s[16:17]
	v_mul_f64 v[88:89], v[88:89], s[40:41]
	v_add_f64 v[142:143], v[142:143], v[148:149]
	v_add_f64 v[209:210], v[237:238], v[209:210]
	v_fma_f64 v[223:224], v[132:133], s[20:21], v[211:212]
	v_fma_f64 v[211:212], v[132:133], s[18:19], v[211:212]
	;; [unrolled: 1-line block ×6, first 2 shown]
	v_add_f64 v[191:192], v[201:202], v[191:192]
	v_mul_f64 v[201:202], v[146:147], s[16:17]
	v_add_f64 v[60:61], v[203:204], v[60:61]
	v_add_f64 v[148:149], v[148:149], v[66:67]
	;; [unrolled: 1-line block ×3, first 2 shown]
	v_mul_f64 v[168:169], v[146:147], s[22:23]
	v_add_f64 v[136:137], v[136:137], v[189:190]
	v_mul_f64 v[199:200], v[0:1], s[36:37]
	v_add_f64 v[72:73], v[76:77], v[72:73]
	v_fma_f64 v[76:77], v[132:133], s[6:7], v[80:81]
	v_fma_f64 v[80:81], v[132:133], s[4:5], v[80:81]
	;; [unrolled: 1-line block ×6, first 2 shown]
	v_add_f64 v[132:133], v[150:151], -v[154:155]
	v_add_f64 v[150:151], v[241:242], v[183:184]
	v_add_f64 v[142:143], v[142:143], v[92:93]
	;; [unrolled: 1-line block ×4, first 2 shown]
	v_mul_f64 v[197:198], v[0:1], s[10:11]
	v_add_f64 v[183:184], v[243:244], v[205:206]
	v_mul_f64 v[187:188], v[0:1], s[40:41]
	v_add_f64 v[195:196], v[245:246], v[219:220]
	v_add_f64 v[205:206], v[217:218], v[221:222]
	v_mul_f64 v[219:220], v[146:147], s[40:41]
	v_add_f64 v[209:210], v[249:250], v[209:210]
	v_add_f64 v[114:115], v[114:115], v[191:192]
	;; [unrolled: 1-line block ×6, first 2 shown]
	v_mul_f64 v[72:73], v[146:147], s[28:29]
	v_mul_f64 v[221:222], v[146:147], s[36:37]
	;; [unrolled: 1-line block ×3, first 2 shown]
	v_add_f64 v[124:125], v[124:125], v[158:159]
	v_add_f64 v[158:159], v[2:3], v[223:224]
	;; [unrolled: 1-line block ×7, first 2 shown]
	v_fma_f64 v[166:167], v[84:85], s[4:5], v[197:198]
	v_fma_f64 v[136:137], v[132:133], s[20:21], v[168:169]
	;; [unrolled: 1-line block ×3, first 2 shown]
	v_add_f64 v[138:139], v[138:139], v[195:196]
	v_add_f64 v[112:113], v[112:113], v[205:206]
	v_fma_f64 v[195:196], v[132:133], s[42:43], v[219:220]
	v_add_f64 v[118:119], v[118:119], v[209:210]
	v_add_f64 v[114:115], v[128:129], v[114:115]
	;; [unrolled: 1-line block ×5, first 2 shown]
	v_fma_f64 v[68:69], v[132:133], s[14:15], v[201:202]
	v_add_f64 v[162:163], v[162:163], v[183:184]
	v_fma_f64 v[201:202], v[132:133], s[12:13], v[201:202]
	v_fma_f64 v[185:186], v[132:133], s[26:27], v[72:73]
	;; [unrolled: 1-line block ×5, first 2 shown]
	v_add_f64 v[126:127], v[134:135], v[150:151]
	v_add_f64 v[142:143], v[142:143], v[82:83]
	v_fma_f64 v[221:222], v[132:133], s[34:35], v[221:222]
	v_add_f64 v[80:81], v[2:3], v[80:81]
	v_add_f64 v[116:117], v[116:117], v[181:182]
	;; [unrolled: 1-line block ×12, first 2 shown]
	s_clause 0x1
	buffer_load_dword v54, off, s[44:47], 0 offset:16
	buffer_load_dword v55, off, s[44:47], 0 offset:20
	v_add_f64 v[68:69], v[68:69], v[76:77]
	v_mul_f64 v[76:77], v[148:149], s[16:17]
	v_add_f64 v[52:53], v[52:53], v[118:119]
	v_add_f64 v[118:119], v[203:204], v[124:125]
	v_fma_f64 v[124:125], v[132:133], s[18:19], v[168:169]
	v_add_f64 v[138:139], v[2:3], v[229:230]
	v_add_f64 v[128:129], v[166:167], v[126:127]
	;; [unrolled: 1-line block ×3, first 2 shown]
	v_mul_f64 v[126:127], v[148:149], s[22:23]
	v_fma_f64 v[140:141], v[132:133], s[4:5], v[146:147]
	v_mul_f64 v[144:145], v[148:149], s[40:41]
	v_mul_f64 v[152:153], v[148:149], s[28:29]
	v_add_f64 v[2:3], v[2:3], v[88:89]
	v_mul_f64 v[88:89], v[148:149], s[10:11]
	v_mul_f64 v[148:149], v[148:149], s[36:37]
	v_fma_f64 v[132:133], v[132:133], s[6:7], v[146:147]
	v_add_f64 v[146:147], v[195:196], v[158:159]
	v_add_f64 v[136:137], v[136:137], v[193:194]
	v_mul_f64 v[102:103], v[92:93], s[28:29]
	v_add_f64 v[100:101], v[100:101], v[154:155]
	v_add_f64 v[104:105], v[104:105], v[162:163]
	;; [unrolled: 1-line block ×4, first 2 shown]
	v_fma_f64 v[168:169], v[96:97], s[14:15], v[76:77]
	v_fma_f64 v[76:77], v[96:97], s[12:13], v[76:77]
	v_add_f64 v[134:135], v[185:186], v[134:135]
	v_add_f64 v[72:73], v[72:73], v[150:151]
	;; [unrolled: 1-line block ×5, first 2 shown]
	v_fma_f64 v[158:159], v[96:97], s[20:21], v[126:127]
	v_add_f64 v[156:157], v[221:222], v[205:206]
	v_fma_f64 v[126:127], v[96:97], s[18:19], v[126:127]
	v_add_f64 v[138:139], v[140:141], v[138:139]
	v_fma_f64 v[140:141], v[96:97], s[42:43], v[144:145]
	v_fma_f64 v[144:145], v[96:97], s[38:39], v[144:145]
	;; [unrolled: 1-line block ×7, first 2 shown]
	v_add_f64 v[2:3], v[132:133], v[2:3]
	v_fma_f64 v[96:97], v[96:97], s[30:31], v[148:149]
	v_mul_f64 v[132:133], v[92:93], s[36:37]
	v_mul_f64 v[185:186], v[92:93], s[10:11]
	v_add_f64 v[74:75], v[94:95], v[74:75]
	v_add_f64 v[76:77], v[76:77], v[136:137]
	v_fma_f64 v[136:137], v[56:57], s[26:27], v[102:103]
	v_add_f64 v[124:125], v[124:125], v[207:208]
	v_fma_f64 v[102:103], v[56:57], s[24:25], v[102:103]
	v_add_f64 v[78:79], v[82:83], v[78:79]
	v_add_f64 v[70:71], v[142:143], v[70:71]
	v_mul_f64 v[142:143], v[92:93], s[22:23]
	v_add_f64 v[68:69], v[158:159], v[68:69]
	v_mul_f64 v[158:159], v[92:93], s[40:41]
	v_mul_f64 v[92:93], v[92:93], s[16:17]
	v_add_f64 v[80:81], v[126:127], v[80:81]
	v_add_f64 v[126:127], v[140:141], v[134:135]
	;; [unrolled: 1-line block ×9, first 2 shown]
	v_fma_f64 v[96:97], v[56:57], s[30:31], v[132:133]
	v_fma_f64 v[132:133], v[56:57], s[34:35], v[132:133]
	;; [unrolled: 1-line block ×4, first 2 shown]
	v_mul_f64 v[162:163], v[74:75], s[16:17]
	v_add_f64 v[124:125], v[168:169], v[124:125]
	v_mul_f64 v[217:218], v[0:1], s[16:17]
	v_mul_f64 v[148:149], v[0:1], s[28:29]
	v_add_f64 v[66:67], v[70:71], v[66:67]
	v_fma_f64 v[150:151], v[56:57], s[20:21], v[142:143]
	v_fma_f64 v[142:143], v[56:57], s[18:19], v[142:143]
	;; [unrolled: 1-line block ×6, first 2 shown]
	v_mul_f64 v[92:93], v[74:75], s[36:37]
	v_mul_f64 v[158:159], v[74:75], s[22:23]
	;; [unrolled: 1-line block ×3, first 2 shown]
	v_add_f64 v[68:69], v[136:137], v[68:69]
	v_mul_f64 v[136:137], v[74:75], s[10:11]
	v_mul_f64 v[74:75], v[74:75], s[28:29]
	;; [unrolled: 1-line block ×3, first 2 shown]
	v_add_f64 v[80:81], v[102:103], v[80:81]
	v_add_f64 v[96:97], v[96:97], v[126:127]
	;; [unrolled: 1-line block ×5, first 2 shown]
	v_fma_f64 v[197:198], v[84:85], s[6:7], v[197:198]
	v_fma_f64 v[164:165], v[84:85], s[34:35], v[199:200]
	v_fma_f64 v[199:200], v[84:85], s[30:31], v[199:200]
	v_fma_f64 v[183:184], v[84:85], s[12:13], v[217:218]
	v_add_f64 v[102:103], v[150:151], v[140:141]
	v_add_f64 v[88:89], v[142:143], v[88:89]
	v_fma_f64 v[140:141], v[90:91], s[12:13], v[162:163]
	v_mul_f64 v[150:151], v[78:79], s[36:37]
	v_add_f64 v[126:127], v[156:157], v[138:139]
	v_add_f64 v[2:3], v[56:57], v[2:3]
	v_fma_f64 v[56:57], v[90:91], s[34:35], v[92:93]
	v_fma_f64 v[92:93], v[90:91], s[30:31], v[92:93]
	;; [unrolled: 1-line block ×11, first 2 shown]
	v_mul_f64 v[90:91], v[78:79], s[10:11]
	v_add_f64 v[124:125], v[152:153], v[124:125]
	v_mul_f64 v[152:153], v[78:79], s[16:17]
	v_mul_f64 v[156:157], v[78:79], s[28:29]
	v_add_f64 v[76:77], v[154:155], v[76:77]
	v_fma_f64 v[98:99], v[84:85], s[26:27], v[148:149]
	v_fma_f64 v[154:155], v[84:85], s[18:19], v[0:1]
	;; [unrolled: 1-line block ×6, first 2 shown]
	v_add_f64 v[62:63], v[66:67], v[62:63]
	v_add_f64 v[56:57], v[56:57], v[68:69]
	;; [unrolled: 1-line block ×13, first 2 shown]
	s_waitcnt vmcnt(0) lgkmcnt(0)
	s_waitcnt_vscnt null, 0x0
	s_barrier
	v_add_f64 v[76:77], v[136:137], v[76:77]
	v_add_f64 v[98:99], v[98:99], v[112:113]
	;; [unrolled: 1-line block ×4, first 2 shown]
	buffer_gl0_inv
	v_add_f64 v[60:61], v[187:188], v[60:61]
	v_add_f64 v[52:53], v[62:63], v[58:59]
	v_add_f64 v[54:55], v[54:55], -v[86:87]
	v_mul_f64 v[86:87], v[78:79], s[40:41]
	v_mul_f64 v[78:79], v[78:79], s[22:23]
	v_fma_f64 v[94:95], v[54:55], s[4:5], v[90:91]
	v_fma_f64 v[74:75], v[54:55], s[42:43], v[86:87]
	;; [unrolled: 1-line block ×12, first 2 shown]
	v_add_f64 v[86:87], v[197:198], v[100:101]
	v_add_f64 v[100:101], v[164:165], v[104:105]
	;; [unrolled: 1-line block ×18, first 2 shown]
	ds_write2_b64 v176, v[64:65], v[118:119] offset1:26
	ds_write2_b64 v176, v[128:129], v[100:101] offset0:52 offset1:78
	ds_write2_b64 v176, v[106:107], v[98:99] offset0:104 offset1:130
	;; [unrolled: 1-line block ×5, first 2 shown]
	ds_write_b64 v176, v[60:61] offset:2496
	ds_write2_b64 v178, v[52:53], v[56:57] offset1:26
	ds_write2_b64 v178, v[58:59], v[62:63] offset0:52 offset1:78
	ds_write2_b64 v178, v[68:69], v[72:73] offset0:104 offset1:130
	;; [unrolled: 1-line block ×5, first 2 shown]
	ds_write_b64 v178, v[126:127] offset:2496
	s_waitcnt lgkmcnt(0)
	s_barrier
	buffer_gl0_inv
	ds_read2_b64 v[0:3], v131 offset1:52
	ds_read2_b64 v[64:67], v171 offset0:82 offset1:134
	ds_read2_b64 v[60:63], v172 offset0:164 offset1:216
	;; [unrolled: 1-line block ×11, first 2 shown]
                                        ; implicit-def: $vgpr134_vgpr135
                                        ; implicit-def: $vgpr136_vgpr137
	s_and_saveexec_b32 s1, s0
	s_cbranch_execz .LBB0_15
; %bb.14:
	ds_read_b64 v[124:125], v131 offset:2496
	ds_read_b64 v[126:127], v131 offset:5200
	;; [unrolled: 1-line block ×4, first 2 shown]
	v_add_nc_u32_e32 v175, 0x138, v130
.LBB0_15:
	s_or_b32 exec_lo, exec_lo, s1
	s_and_saveexec_b32 s1, vcc_lo
	s_cbranch_execz .LBB0_18
; %bb.16:
	v_mul_u32_u24_e32 v96, 3, v255
	v_mov_b32_e32 v139, 0
	v_mad_u32_u24 v138, v255, 3, 0xffffff64
	v_mul_u32_u24_e32 v133, 3, v130
	v_lshlrev_b32_e32 v96, 4, v96
	v_lshlrev_b32_e32 v133, 4, v133
	v_add_co_u32 v100, s1, s8, v96
	v_add_co_ci_u32_e64 v101, null, s9, 0, s1
	v_lshlrev_b64 v[96:97], 4, v[138:139]
	v_add_co_u32 v98, vcc_lo, 0x1500, v100
	v_add_co_ci_u32_e32 v99, vcc_lo, 0, v101, vcc_lo
	v_mad_u32_u24 v138, v255, 3, 0xfffffec8
	v_add_co_u32 v102, vcc_lo, s8, v96
	v_add_co_ci_u32_e32 v103, vcc_lo, s9, v97, vcc_lo
	v_add_co_u32 v104, vcc_lo, 0x1000, v100
	v_add_co_ci_u32_e32 v105, vcc_lo, 0, v101, vcc_lo
	v_add_co_u32 v96, vcc_lo, 0x1000, v102
	v_lshlrev_b64 v[116:117], 4, v[138:139]
	v_add_co_ci_u32_e32 v97, vcc_lo, 0, v103, vcc_lo
	v_add_co_u32 v106, vcc_lo, 0x1500, v102
	v_add_co_ci_u32_e32 v107, vcc_lo, 0, v103, vcc_lo
	v_add_co_u32 v131, vcc_lo, s8, v116
	v_add_co_ci_u32_e32 v132, vcc_lo, s9, v117, vcc_lo
	v_mad_u32_u24 v138, v255, 3, 0xfffffe2c
	v_add_co_u32 v128, vcc_lo, 0x1500, v131
	v_add_co_ci_u32_e32 v129, vcc_lo, 0, v132, vcc_lo
	v_add_co_u32 v133, s1, s8, v133
	v_add_co_u32 v131, vcc_lo, 0x1000, v131
	v_add_co_ci_u32_e64 v151, null, s9, 0, s1
	v_add_co_ci_u32_e32 v132, vcc_lo, 0, v132, vcc_lo
	s_clause 0x7
	global_load_dwordx4 v[108:111], v[98:99], off offset:32
	global_load_dwordx4 v[112:115], v[98:99], off offset:16
	;; [unrolled: 1-line block ×8, first 2 shown]
	v_lshlrev_b64 v[128:129], 4, v[138:139]
	v_add_co_u32 v140, vcc_lo, 0x1500, v133
	v_add_co_ci_u32_e32 v141, vcc_lo, 0, v151, vcc_lo
	v_add_co_u32 v150, vcc_lo, 0x1000, v133
	v_add_co_ci_u32_e32 v151, vcc_lo, 0, v151, vcc_lo
	v_add_co_u32 v133, vcc_lo, s8, v128
	v_mad_u32_u24 v138, v255, 3, 0xfffffd90
	v_add_co_ci_u32_e32 v162, vcc_lo, s9, v129, vcc_lo
	s_clause 0x1
	global_load_dwordx4 v[150:153], v[150:151], off offset:1280
	global_load_dwordx4 v[154:157], v[140:141], off offset:32
	v_add_co_u32 v128, vcc_lo, 0x1500, v133
	v_lshlrev_b64 v[158:159], 4, v[138:139]
	v_add_co_ci_u32_e32 v129, vcc_lo, 0, v162, vcc_lo
	v_add_co_u32 v166, vcc_lo, 0x1000, v133
	v_add_co_ci_u32_e32 v167, vcc_lo, 0, v162, vcc_lo
	s_clause 0x1
	global_load_dwordx4 v[162:165], v[131:132], off offset:1280
	global_load_dwordx4 v[170:173], v[128:129], off offset:16
	v_add_co_u32 v131, vcc_lo, s8, v158
	v_add_co_ci_u32_e32 v132, vcc_lo, s9, v159, vcc_lo
	s_clause 0x1
	global_load_dwordx4 v[176:179], v[166:167], off offset:1280
	global_load_dwordx4 v[180:183], v[128:129], off offset:32
	v_add_co_u32 v128, vcc_lo, 0x1500, v131
	v_add_co_ci_u32_e32 v129, vcc_lo, 0, v132, vcc_lo
	v_add_co_u32 v131, vcc_lo, 0x1000, v131
	v_add_co_ci_u32_e32 v132, vcc_lo, 0, v132, vcc_lo
	s_clause 0x3
	global_load_dwordx4 v[184:187], v[128:129], off offset:16
	global_load_dwordx4 v[188:191], v[131:132], off offset:1280
	global_load_dwordx4 v[192:195], v[128:129], off offset:32
	global_load_dwordx4 v[196:199], v[140:141], off offset:16
	v_mov_b32_e32 v131, v139
	s_clause 0x2
	buffer_load_dword v138, off, s[44:47], 0 offset:24
	buffer_load_dword v140, off, s[44:47], 0
	buffer_load_dword v141, off, s[44:47], 0 offset:4
	s_waitcnt vmcnt(0)
	v_mov_b32_e32 v141, v139
	v_mul_hi_u32 v133, 0x60f25deb, v255
	v_lshlrev_b64 v[128:129], 4, v[130:131]
	s_clause 0x1
	buffer_load_dword v130, off, s[44:47], 0 offset:8
	buffer_load_dword v131, off, s[44:47], 0 offset:12
	v_lshrrev_b32_e32 v208, 7, v133
	s_waitcnt lgkmcnt(0)
	v_mul_f64 v[226:227], v[90:91], v[110:111]
	v_mul_f64 v[222:223], v[42:43], v[114:115]
	;; [unrolled: 1-line block ×20, first 2 shown]
	v_fma_f64 v[94:95], v[94:95], v[112:113], -v[222:223]
	v_fma_f64 v[42:43], v[42:43], v[112:113], v[114:115]
	v_fma_f64 v[46:47], v[46:47], v[116:117], v[224:225]
	v_fma_f64 v[86:87], v[86:87], v[116:117], -v[118:119]
	v_fma_f64 v[50:51], v[50:51], v[108:109], v[226:227]
	v_fma_f64 v[90:91], v[90:91], v[108:109], -v[110:111]
	v_mul_f64 v[240:241], v[74:75], v[164:165]
	v_mul_f64 v[164:165], v[34:35], v[164:165]
	;; [unrolled: 1-line block ×4, first 2 shown]
	v_fma_f64 v[92:93], v[92:93], v[104:105], -v[232:233]
	v_mul_f64 v[112:113], v[72:73], v[178:179]
	v_mul_f64 v[114:115], v[76:77], v[182:183]
	;; [unrolled: 1-line block ×4, first 2 shown]
	v_fma_f64 v[40:41], v[40:41], v[104:105], v[106:107]
	v_fma_f64 v[84:85], v[84:85], v[96:97], -v[98:99]
	v_fma_f64 v[88:89], v[88:89], v[100:101], -v[102:103]
	v_fma_f64 v[152:153], v[64:65], v[152:153], v[228:229]
	v_fma_f64 v[24:25], v[24:25], v[154:155], v[230:231]
	v_mul_f64 v[110:111], v[18:19], v[186:187]
	v_fma_f64 v[20:21], v[64:65], v[150:151], -v[20:21]
	v_mul_f64 v[64:65], v[66:67], v[190:191]
	v_mul_f64 v[178:179], v[16:17], v[198:199]
	;; [unrolled: 1-line block ×4, first 2 shown]
	v_fma_f64 v[68:69], v[68:69], v[154:155], -v[156:157]
	v_mul_f64 v[154:155], v[62:63], v[186:187]
	v_mul_f64 v[156:157], v[22:23], v[190:191]
	;; [unrolled: 1-line block ×3, first 2 shown]
	v_fma_f64 v[82:83], v[82:83], v[146:147], -v[238:239]
	v_fma_f64 v[34:35], v[34:35], v[162:163], v[240:241]
	v_fma_f64 v[38:39], v[38:39], v[142:143], v[242:243]
	;; [unrolled: 1-line block ×3, first 2 shown]
	v_fma_f64 v[74:75], v[74:75], v[162:163], -v[164:165]
	v_fma_f64 v[78:79], v[78:79], v[142:143], -v[144:145]
	;; [unrolled: 1-line block ×3, first 2 shown]
	v_fma_f64 v[32:33], v[32:33], v[176:177], v[112:113]
	v_fma_f64 v[36:37], v[36:37], v[180:181], v[114:115]
	;; [unrolled: 1-line block ×3, first 2 shown]
	v_fma_f64 v[72:73], v[72:73], v[176:177], -v[118:119]
	v_fma_f64 v[76:77], v[76:77], v[180:181], -v[108:109]
	;; [unrolled: 1-line block ×3, first 2 shown]
	v_fma_f64 v[44:45], v[44:45], v[96:97], v[234:235]
	v_fma_f64 v[22:23], v[22:23], v[188:189], v[64:65]
	v_fma_f64 v[60:61], v[60:61], v[196:197], -v[178:179]
	v_fma_f64 v[16:17], v[16:17], v[196:197], v[182:183]
	v_fma_f64 v[26:27], v[26:27], v[192:193], v[150:151]
	;; [unrolled: 1-line block ×4, first 2 shown]
	v_fma_f64 v[64:65], v[66:67], v[188:189], -v[156:157]
	v_fma_f64 v[66:67], v[70:71], v[192:193], -v[172:173]
	v_add_f64 v[70:71], v[58:59], -v[94:95]
	v_add_f64 v[50:51], v[46:47], -v[50:51]
	;; [unrolled: 1-line block ×24, first 2 shown]
	s_waitcnt vmcnt(1)
	v_add_co_u32 v174, vcc_lo, s2, v130
	v_mul_hi_u32 v132, 0x60f25deb, v138
	s_waitcnt vmcnt(0)
	v_add_co_ci_u32_e32 v214, vcc_lo, s3, v131, vcc_lo
	v_lshlrev_b64 v[130:131], 4, v[140:141]
	v_add_co_u32 v128, vcc_lo, v174, v128
	v_add_co_ci_u32_e32 v129, vcc_lo, v214, v129, vcc_lo
	v_lshrrev_b32_e32 v132, 7, v132
	v_add_co_u32 v158, vcc_lo, v174, v130
	v_add_f64 v[16:17], v[96:97], v[42:43]
	v_fma_f64 v[102:103], v[58:59], 2.0, -v[70:71]
	v_fma_f64 v[42:43], v[86:87], 2.0, -v[42:43]
	;; [unrolled: 1-line block ×9, first 2 shown]
	v_add_co_ci_u32_e32 v159, vcc_lo, v214, v131, vcc_lo
	v_fma_f64 v[110:111], v[52:53], 2.0, -v[78:79]
	v_fma_f64 v[52:53], v[72:73], 2.0, -v[28:29]
	;; [unrolled: 1-line block ×4, first 2 shown]
	v_add_co_u32 v130, vcc_lo, 0x1000, v128
	v_add_f64 v[18:19], v[70:71], -v[50:51]
	v_fma_f64 v[50:51], v[20:21], 2.0, -v[68:69]
	v_fma_f64 v[60:61], v[152:153], 2.0, -v[24:25]
	;; [unrolled: 1-line block ×8, first 2 shown]
	v_add_co_ci_u32_e32 v131, vcc_lo, 0, v129, vcc_lo
	v_fma_f64 v[106:107], v[12:13], 2.0, -v[92:93]
	v_fma_f64 v[74:75], v[44:45], 2.0, -v[48:49]
	v_mad_u32_u24 v138, 0x3f6, v132, v138
	v_add_co_u32 v132, vcc_lo, 0x2800, v128
	v_fma_f64 v[104:105], v[14:15], 2.0, -v[96:97]
	v_add_co_ci_u32_e32 v133, vcc_lo, 0, v129, vcc_lo
	v_add_co_u32 v140, vcc_lo, 0x3800, v128
	v_add_co_ci_u32_e32 v141, vcc_lo, 0, v129, vcc_lo
	v_add_co_u32 v166, vcc_lo, 0x1800, v128
	v_add_f64 v[6:7], v[82:83], -v[38:39]
	v_add_f64 v[4:5], v[88:89], v[30:31]
	v_add_co_ci_u32_e32 v167, vcc_lo, 0, v129, vcc_lo
	v_add_co_u32 v168, vcc_lo, 0x4000, v128
	v_add_f64 v[10:11], v[78:79], -v[36:37]
	v_add_f64 v[8:9], v[80:81], v[28:29]
	v_add_co_ci_u32_e32 v169, vcc_lo, 0, v129, vcc_lo
	v_add_f64 v[22:23], v[98:99], -v[24:25]
	v_add_f64 v[20:21], v[100:101], v[68:69]
	v_add_co_u32 v200, vcc_lo, 0x3000, v128
	v_add_f64 v[14:15], v[76:77], -v[26:27]
	v_add_f64 v[12:13], v[94:95], v[62:63]
	v_add_co_ci_u32_e32 v201, vcc_lo, 0, v129, vcc_lo
	v_add_co_u32 v202, vcc_lo, 0x800, v128
	v_lshlrev_b64 v[204:205], 4, v[138:139]
	v_add_f64 v[2:3], v[90:91], -v[48:49]
	v_add_f64 v[0:1], v[92:93], v[40:41]
	v_add_co_ci_u32_e32 v203, vcc_lo, 0, v129, vcc_lo
	v_add_f64 v[38:39], v[84:85], -v[54:55]
	v_add_f64 v[36:37], v[108:109], -v[56:57]
	v_add_co_u32 v206, vcc_lo, 0x4800, v128
	v_add_f64 v[30:31], v[102:103], -v[42:43]
	v_add_f64 v[34:35], v[86:87], -v[46:47]
	;; [unrolled: 1-line block ×6, first 2 shown]
	v_add_co_ci_u32_e32 v207, vcc_lo, 0, v129, vcc_lo
	v_add_f64 v[46:47], v[112:113], -v[64:65]
	v_add_f64 v[44:45], v[114:115], -v[66:67]
	v_mad_u32_u24 v138, 0x3f6, v208, v255
	v_add_co_u32 v204, vcc_lo, v174, v204
	v_add_f64 v[32:33], v[106:107], -v[74:75]
	v_add_f64 v[28:29], v[104:105], -v[58:59]
	v_add_co_ci_u32_e32 v205, vcc_lo, v214, v205, vcc_lo
	v_lshlrev_b64 v[208:209], 4, v[138:139]
	v_add_co_u32 v210, vcc_lo, 0x1000, v204
	v_add_co_ci_u32_e32 v211, vcc_lo, 0, v205, vcc_lo
	v_add_co_u32 v212, vcc_lo, 0x2800, v204
	v_fma_f64 v[58:59], v[82:83], 2.0, -v[6:7]
	v_fma_f64 v[56:57], v[88:89], 2.0, -v[4:5]
	v_add_co_ci_u32_e32 v213, vcc_lo, 0, v205, vcc_lo
	v_fma_f64 v[62:63], v[78:79], 2.0, -v[10:11]
	v_fma_f64 v[60:61], v[80:81], 2.0, -v[8:9]
	v_add_co_u32 v208, vcc_lo, v174, v208
	v_fma_f64 v[26:27], v[70:71], 2.0, -v[18:19]
	v_fma_f64 v[70:71], v[98:99], 2.0, -v[22:23]
	v_fma_f64 v[68:69], v[100:101], 2.0, -v[20:21]
	v_add_co_ci_u32_e32 v209, vcc_lo, v214, v209, vcc_lo
	v_add_co_u32 v214, vcc_lo, 0x3800, v204
	v_fma_f64 v[66:67], v[76:77], 2.0, -v[14:15]
	v_fma_f64 v[64:65], v[94:95], 2.0, -v[12:13]
	v_add_co_ci_u32_e32 v215, vcc_lo, 0, v205, vcc_lo
	v_fma_f64 v[54:55], v[90:91], 2.0, -v[2:3]
	v_fma_f64 v[52:53], v[92:93], 2.0, -v[0:1]
	v_add_co_u32 v216, vcc_lo, 0x1000, v208
	v_fma_f64 v[82:83], v[84:85], 2.0, -v[38:39]
	v_fma_f64 v[80:81], v[108:109], 2.0, -v[36:37]
	v_add_co_ci_u32_e32 v217, vcc_lo, 0, v209, vcc_lo
	v_fma_f64 v[78:79], v[86:87], 2.0, -v[34:35]
	v_fma_f64 v[86:87], v[110:111], 2.0, -v[42:43]
	;; [unrolled: 1-line block ×3, first 2 shown]
	v_add_co_u32 v218, vcc_lo, 0x2800, v208
	v_fma_f64 v[94:95], v[116:117], 2.0, -v[50:51]
	v_fma_f64 v[92:93], v[118:119], 2.0, -v[48:49]
	;; [unrolled: 1-line block ×4, first 2 shown]
	v_add_co_ci_u32_e32 v219, vcc_lo, 0, v209, vcc_lo
	v_fma_f64 v[76:77], v[106:107], 2.0, -v[32:33]
	v_add_co_u32 v220, vcc_lo, 0x3800, v208
	v_fma_f64 v[74:75], v[102:103], 2.0, -v[30:31]
	v_fma_f64 v[72:73], v[104:105], 2.0, -v[28:29]
	;; [unrolled: 1-line block ×3, first 2 shown]
	v_add_co_ci_u32_e32 v221, vcc_lo, 0, v209, vcc_lo
	global_store_dwordx4 v[206:207], v[4:7], off offset:288
	global_store_dwordx4 v[168:169], v[8:11], off offset:1504
	;; [unrolled: 1-line block ×6, first 2 shown]
	global_store_dwordx4 v[158:159], v[36:39], off
	global_store_dwordx4 v[166:167], v[60:63], off offset:928
	global_store_dwordx4 v[200:201], v[40:43], off offset:192
	;; [unrolled: 1-line block ×10, first 2 shown]
	global_store_dwordx4 v[128:129], v[92:95], off
	global_store_dwordx4 v[128:129], v[88:91], off offset:832
	global_store_dwordx4 v[204:205], v[76:79], off
	global_store_dwordx4 v[208:209], v[72:75], off
	global_store_dwordx4 v[216:217], v[24:27], off offset:1312
	global_store_dwordx4 v[218:219], v[28:31], off offset:576
	;; [unrolled: 1-line block ×3, first 2 shown]
	s_and_b32 exec_lo, exec_lo, s0
	s_cbranch_execz .LBB0_18
; %bb.17:
	v_mul_i32_i24_e32 v138, 3, v175
	v_lshlrev_b64 v[0:1], 4, v[138:139]
	v_add_co_u32 v2, vcc_lo, s8, v0
	v_add_co_ci_u32_e32 v3, vcc_lo, s9, v1, vcc_lo
	v_add_co_u32 v0, vcc_lo, 0x1000, v2
	v_add_co_ci_u32_e32 v1, vcc_lo, 0, v3, vcc_lo
	;; [unrolled: 2-line block ×3, first 2 shown]
	s_clause 0x2
	global_load_dwordx4 v[0:3], v[0:1], off offset:1280
	global_load_dwordx4 v[4:7], v[8:9], off offset:16
	;; [unrolled: 1-line block ×3, first 2 shown]
	s_clause 0x3
	buffer_load_dword v18, off, s[44:47], 0 offset:28
	buffer_load_dword v19, off, s[44:47], 0 offset:32
	;; [unrolled: 1-line block ×4, first 2 shown]
	s_waitcnt vmcnt(6)
	v_mul_f64 v[12:13], v[126:127], v[2:3]
	v_mul_f64 v[2:3], v[122:123], v[2:3]
	s_waitcnt vmcnt(5)
	v_mul_f64 v[14:15], v[134:135], v[6:7]
	s_waitcnt vmcnt(2)
	v_mul_f64 v[6:7], v[18:19], v[6:7]
	v_mul_f64 v[16:17], v[136:137], v[10:11]
	s_waitcnt vmcnt(0)
	v_mul_f64 v[10:11], v[20:21], v[10:11]
	v_fma_f64 v[12:13], v[122:123], v[0:1], v[12:13]
	v_fma_f64 v[0:1], v[126:127], v[0:1], -v[2:3]
	v_fma_f64 v[2:3], v[18:19], v[4:5], v[14:15]
	v_fma_f64 v[4:5], v[134:135], v[4:5], -v[6:7]
	;; [unrolled: 2-line block ×3, first 2 shown]
	v_add_f64 v[10:11], v[120:121], -v[2:3]
	v_add_f64 v[14:15], v[124:125], -v[4:5]
	;; [unrolled: 1-line block ×4, first 2 shown]
	v_fma_f64 v[16:17], v[120:121], 2.0, -v[10:11]
	v_fma_f64 v[18:19], v[124:125], 2.0, -v[14:15]
	;; [unrolled: 1-line block ×4, first 2 shown]
	v_add_f64 v[0:1], v[10:11], v[4:5]
	v_add_f64 v[2:3], v[14:15], -v[2:3]
	v_add_f64 v[4:5], v[16:17], -v[6:7]
	;; [unrolled: 1-line block ×3, first 2 shown]
	v_fma_f64 v[8:9], v[10:11], 2.0, -v[0:1]
	v_fma_f64 v[10:11], v[14:15], 2.0, -v[2:3]
	v_fma_f64 v[12:13], v[16:17], 2.0, -v[4:5]
	v_fma_f64 v[14:15], v[18:19], 2.0, -v[6:7]
	v_add_co_u32 v16, vcc_lo, 0x5000, v128
	v_add_co_ci_u32_e32 v17, vcc_lo, 0, v129, vcc_lo
	global_store_dwordx4 v[132:133], v[8:11], off offset:160
	global_store_dwordx4 v[140:141], v[4:7], off offset:1472
	;; [unrolled: 1-line block ×4, first 2 shown]
.LBB0_18:
	s_endpgm
	.section	.rodata,"a",@progbits
	.p2align	6, 0x0
	.amdhsa_kernel fft_rtc_back_len1352_factors_2_13_13_4_wgs_52_tpt_52_halfLds_dp_ip_CI_unitstride_sbrr_dirReg
		.amdhsa_group_segment_fixed_size 0
		.amdhsa_private_segment_fixed_size 48
		.amdhsa_kernarg_size 88
		.amdhsa_user_sgpr_count 6
		.amdhsa_user_sgpr_private_segment_buffer 1
		.amdhsa_user_sgpr_dispatch_ptr 0
		.amdhsa_user_sgpr_queue_ptr 0
		.amdhsa_user_sgpr_kernarg_segment_ptr 1
		.amdhsa_user_sgpr_dispatch_id 0
		.amdhsa_user_sgpr_flat_scratch_init 0
		.amdhsa_user_sgpr_private_segment_size 0
		.amdhsa_wavefront_size32 1
		.amdhsa_uses_dynamic_stack 0
		.amdhsa_system_sgpr_private_segment_wavefront_offset 1
		.amdhsa_system_sgpr_workgroup_id_x 1
		.amdhsa_system_sgpr_workgroup_id_y 0
		.amdhsa_system_sgpr_workgroup_id_z 0
		.amdhsa_system_sgpr_workgroup_info 0
		.amdhsa_system_vgpr_workitem_id 0
		.amdhsa_next_free_vgpr 256
		.amdhsa_next_free_sgpr 48
		.amdhsa_reserve_vcc 1
		.amdhsa_reserve_flat_scratch 0
		.amdhsa_float_round_mode_32 0
		.amdhsa_float_round_mode_16_64 0
		.amdhsa_float_denorm_mode_32 3
		.amdhsa_float_denorm_mode_16_64 3
		.amdhsa_dx10_clamp 1
		.amdhsa_ieee_mode 1
		.amdhsa_fp16_overflow 0
		.amdhsa_workgroup_processor_mode 1
		.amdhsa_memory_ordered 1
		.amdhsa_forward_progress 0
		.amdhsa_shared_vgpr_count 0
		.amdhsa_exception_fp_ieee_invalid_op 0
		.amdhsa_exception_fp_denorm_src 0
		.amdhsa_exception_fp_ieee_div_zero 0
		.amdhsa_exception_fp_ieee_overflow 0
		.amdhsa_exception_fp_ieee_underflow 0
		.amdhsa_exception_fp_ieee_inexact 0
		.amdhsa_exception_int_div_zero 0
	.end_amdhsa_kernel
	.text
.Lfunc_end0:
	.size	fft_rtc_back_len1352_factors_2_13_13_4_wgs_52_tpt_52_halfLds_dp_ip_CI_unitstride_sbrr_dirReg, .Lfunc_end0-fft_rtc_back_len1352_factors_2_13_13_4_wgs_52_tpt_52_halfLds_dp_ip_CI_unitstride_sbrr_dirReg
                                        ; -- End function
	.section	.AMDGPU.csdata,"",@progbits
; Kernel info:
; codeLenInByte = 22432
; NumSgprs: 50
; NumVgprs: 256
; ScratchSize: 48
; MemoryBound: 1
; FloatMode: 240
; IeeeMode: 1
; LDSByteSize: 0 bytes/workgroup (compile time only)
; SGPRBlocks: 6
; VGPRBlocks: 31
; NumSGPRsForWavesPerEU: 50
; NumVGPRsForWavesPerEU: 256
; Occupancy: 4
; WaveLimiterHint : 1
; COMPUTE_PGM_RSRC2:SCRATCH_EN: 1
; COMPUTE_PGM_RSRC2:USER_SGPR: 6
; COMPUTE_PGM_RSRC2:TRAP_HANDLER: 0
; COMPUTE_PGM_RSRC2:TGID_X_EN: 1
; COMPUTE_PGM_RSRC2:TGID_Y_EN: 0
; COMPUTE_PGM_RSRC2:TGID_Z_EN: 0
; COMPUTE_PGM_RSRC2:TIDIG_COMP_CNT: 0
	.text
	.p2alignl 6, 3214868480
	.fill 48, 4, 3214868480
	.type	__hip_cuid_6aebac1c5a8fa4cf,@object ; @__hip_cuid_6aebac1c5a8fa4cf
	.section	.bss,"aw",@nobits
	.globl	__hip_cuid_6aebac1c5a8fa4cf
__hip_cuid_6aebac1c5a8fa4cf:
	.byte	0                               ; 0x0
	.size	__hip_cuid_6aebac1c5a8fa4cf, 1

	.ident	"AMD clang version 19.0.0git (https://github.com/RadeonOpenCompute/llvm-project roc-6.4.0 25133 c7fe45cf4b819c5991fe208aaa96edf142730f1d)"
	.section	".note.GNU-stack","",@progbits
	.addrsig
	.addrsig_sym __hip_cuid_6aebac1c5a8fa4cf
	.amdgpu_metadata
---
amdhsa.kernels:
  - .args:
      - .actual_access:  read_only
        .address_space:  global
        .offset:         0
        .size:           8
        .value_kind:     global_buffer
      - .offset:         8
        .size:           8
        .value_kind:     by_value
      - .actual_access:  read_only
        .address_space:  global
        .offset:         16
        .size:           8
        .value_kind:     global_buffer
      - .actual_access:  read_only
        .address_space:  global
        .offset:         24
        .size:           8
        .value_kind:     global_buffer
      - .offset:         32
        .size:           8
        .value_kind:     by_value
      - .actual_access:  read_only
        .address_space:  global
        .offset:         40
        .size:           8
        .value_kind:     global_buffer
      - .actual_access:  read_only
        .address_space:  global
        .offset:         48
        .size:           8
        .value_kind:     global_buffer
      - .offset:         56
        .size:           4
        .value_kind:     by_value
      - .actual_access:  read_only
        .address_space:  global
        .offset:         64
        .size:           8
        .value_kind:     global_buffer
      - .actual_access:  read_only
        .address_space:  global
        .offset:         72
        .size:           8
        .value_kind:     global_buffer
      - .address_space:  global
        .offset:         80
        .size:           8
        .value_kind:     global_buffer
    .group_segment_fixed_size: 0
    .kernarg_segment_align: 8
    .kernarg_segment_size: 88
    .language:       OpenCL C
    .language_version:
      - 2
      - 0
    .max_flat_workgroup_size: 52
    .name:           fft_rtc_back_len1352_factors_2_13_13_4_wgs_52_tpt_52_halfLds_dp_ip_CI_unitstride_sbrr_dirReg
    .private_segment_fixed_size: 48
    .sgpr_count:     50
    .sgpr_spill_count: 0
    .symbol:         fft_rtc_back_len1352_factors_2_13_13_4_wgs_52_tpt_52_halfLds_dp_ip_CI_unitstride_sbrr_dirReg.kd
    .uniform_work_group_size: 1
    .uses_dynamic_stack: false
    .vgpr_count:     256
    .vgpr_spill_count: 13
    .wavefront_size: 32
    .workgroup_processor_mode: 1
amdhsa.target:   amdgcn-amd-amdhsa--gfx1030
amdhsa.version:
  - 1
  - 2
...

	.end_amdgpu_metadata
